;; amdgpu-corpus repo=ROCm/rocFFT kind=compiled arch=gfx1030 opt=O3
	.text
	.amdgcn_target "amdgcn-amd-amdhsa--gfx1030"
	.amdhsa_code_object_version 6
	.protected	bluestein_single_back_len1053_dim1_sp_op_CI_CI ; -- Begin function bluestein_single_back_len1053_dim1_sp_op_CI_CI
	.globl	bluestein_single_back_len1053_dim1_sp_op_CI_CI
	.p2align	8
	.type	bluestein_single_back_len1053_dim1_sp_op_CI_CI,@function
bluestein_single_back_len1053_dim1_sp_op_CI_CI: ; @bluestein_single_back_len1053_dim1_sp_op_CI_CI
; %bb.0:
	s_load_dwordx4 s[16:19], s[4:5], 0x28
	v_mul_u32_u24_e32 v1, 0x231, v0
	v_mov_b32_e32 v69, 0
	s_mov_b32 s0, exec_lo
	v_lshrrev_b32_e32 v1, 16, v1
	v_add_nc_u32_e32 v68, s6, v1
	s_waitcnt lgkmcnt(0)
	v_cmpx_gt_u64_e64 s[16:17], v[68:69]
	s_cbranch_execz .LBB0_10
; %bb.1:
	s_clause 0x1
	s_load_dwordx4 s[0:3], s[4:5], 0x18
	s_load_dwordx4 s[12:15], s[4:5], 0x0
	v_mul_lo_u16 v1, 0x75, v1
	v_mov_b32_e32 v25, 3
                                        ; implicit-def: $vgpr60
                                        ; implicit-def: $vgpr56
	v_sub_nc_u16 v12, v0, v1
	v_and_b32_e32 v92, 0xffff, v12
	v_lshlrev_b32_e32 v91, 3, v92
	v_add_co_u32 v66, null, 0x75, v92
	s_waitcnt lgkmcnt(0)
	s_load_dwordx4 s[8:11], s[0:1], 0x0
	v_add_co_u32 v65, null, 0xea, v92
	global_load_dwordx2 v[81:82], v91, s[12:13]
	v_and_b32_e32 v23, 0xff, v66
	v_add_nc_u32_e32 v27, 0x400, v91
	v_add_nc_u32_e32 v28, 0x1400, v91
	s_waitcnt lgkmcnt(0)
	v_mad_u64_u32 v[0:1], null, s10, v68, 0
	v_mad_u64_u32 v[2:3], null, s8, v92, 0
	s_mul_i32 s0, s9, 0xaf8
	s_mul_hi_u32 s1, s8, 0xaf8
	s_mul_i32 s6, s8, 0xaf8
	s_add_i32 s1, s1, s0
	v_add_co_u32 v17, s0, s12, v91
	v_mad_u64_u32 v[4:5], null, s11, v68, v[1:2]
	v_add_co_ci_u32_e64 v18, null, s13, 0, s0
	s_mul_i32 s0, s9, 0xffffedb8
	s_sub_i32 s0, s0, s8
	v_mad_u64_u32 v[5:6], null, s9, v92, v[3:4]
	v_mov_b32_e32 v1, v4
	v_lshlrev_b64 v[0:1], 3, v[0:1]
	v_mov_b32_e32 v3, v5
	v_add_co_u32 v0, vcc_lo, s18, v0
	v_lshlrev_b64 v[2:3], 3, v[2:3]
	v_add_co_ci_u32_e32 v1, vcc_lo, s19, v1, vcc_lo
	v_add_co_u32 v0, vcc_lo, v0, v2
	v_add_co_ci_u32_e32 v1, vcc_lo, v1, v3, vcc_lo
	v_add_co_u32 v2, vcc_lo, v0, s6
	;; [unrolled: 2-line block ×4, first 2 shown]
	v_add_co_ci_u32_e32 v9, vcc_lo, 0, v18, vcc_lo
	v_mad_u64_u32 v[6:7], null, 0xffffedb8, s8, v[4:5]
	v_add_co_u32 v10, vcc_lo, 0x1000, v17
	v_add_co_ci_u32_e32 v11, vcc_lo, 0, v18, vcc_lo
	global_load_dwordx2 v[85:86], v[8:9], off offset:760
	s_clause 0x1
	global_load_dwordx2 v[0:1], v[0:1], off
	global_load_dwordx2 v[2:3], v[2:3], off
	v_add_nc_u32_e32 v7, s0, v7
	v_add_co_u32 v13, vcc_lo, v6, s6
	global_load_dwordx2 v[83:84], v[10:11], off offset:1520
	v_add_co_ci_u32_e32 v14, vcc_lo, s1, v7, vcc_lo
	v_add_co_u32 v15, vcc_lo, v13, s6
	v_add_co_ci_u32_e32 v16, vcc_lo, s1, v14, vcc_lo
	v_add_co_u32 v17, vcc_lo, 0x1800, v17
	v_add_co_ci_u32_e32 v18, vcc_lo, 0, v18, vcc_lo
	v_mad_u64_u32 v[19:20], null, 0xffffedb8, s8, v[15:16]
	s_clause 0x1
	global_load_dwordx2 v[4:5], v[4:5], off
	global_load_dwordx2 v[6:7], v[6:7], off
	s_clause 0x3
	global_load_dwordx2 v[79:80], v91, s[12:13] offset:936
	global_load_dwordx2 v[69:70], v91, s[12:13] offset:1872
	global_load_dwordx2 v[73:74], v[8:9], off offset:1696
	global_load_dwordx2 v[71:72], v[17:18], off offset:408
	global_load_dwordx2 v[8:9], v[13:14], off
	global_load_dwordx2 v[15:16], v[15:16], off
	v_add_nc_u32_e32 v20, s0, v20
	v_add_co_u32 v13, vcc_lo, v19, s6
	v_add_co_ci_u32_e32 v14, vcc_lo, s1, v20, vcc_lo
	global_load_dwordx2 v[19:20], v[19:20], off
	v_add_co_u32 v21, vcc_lo, v13, s6
	v_add_co_ci_u32_e32 v22, vcc_lo, s1, v14, vcc_lo
	global_load_dwordx2 v[75:76], v[10:11], off offset:584
	global_load_dwordx2 v[10:11], v[13:14], off
	global_load_dwordx2 v[77:78], v[17:18], off offset:1344
	global_load_dwordx2 v[17:18], v[21:22], off
	v_and_b32_e32 v14, 0xff, v12
	v_mov_b32_e32 v21, 0xaaab
	v_mul_lo_u16 v13, v12, 3
	s_load_dwordx4 s[8:11], s[2:3], 0x0
	v_cmp_gt_u16_e32 vcc_lo, 0x51, v12
	v_mul_lo_u16 v22, 0xab, v14
	v_mul_u32_u24_sdwa v21, v65, v21 dst_sel:DWORD dst_unused:UNUSED_PAD src0_sel:WORD_0 src1_sel:DWORD
	v_add_nc_u32_e32 v14, 0xc00, v91
	v_lshlrev_b32_sdwa v62, v25, v13 dst_sel:DWORD dst_unused:UNUSED_PAD src0_sel:DWORD src1_sel:WORD_0
	v_add_nc_u32_e32 v13, 0x1800, v91
	v_lshrrev_b16 v26, 9, v22
	v_mul_lo_u16 v22, 0xab, v23
	v_lshrrev_b32_e32 v30, 17, v21
	s_load_dwordx2 s[2:3], s[4:5], 0x38
	v_mul_lo_u16 v29, v26, 3
	v_lshrrev_b16 v31, 9, v22
	v_mul_lo_u16 v33, v31, 3
	s_waitcnt vmcnt(15)
	v_mul_f32_e32 v21, v1, v82
	s_waitcnt vmcnt(14)
	v_mul_f32_e32 v22, v2, v86
	v_mul_f32_e32 v32, v0, v82
	;; [unrolled: 1-line block ×3, first 2 shown]
	v_fmac_f32_e32 v21, v0, v81
	v_fma_f32 v24, v3, v85, -v22
	v_fma_f32 v22, v1, v81, -v32
	v_fmac_f32_e32 v23, v2, v85
	ds_write_b64 v91, v[23:24] offset:2808
	s_waitcnt vmcnt(12)
	v_mul_f32_e32 v0, v5, v84
	v_mul_f32_e32 v1, v4, v84
	s_waitcnt vmcnt(10)
	v_mul_f32_e32 v2, v7, v80
	v_mul_f32_e32 v3, v6, v80
	v_fmac_f32_e32 v0, v4, v83
	s_waitcnt vmcnt(6)
	v_mul_f32_e32 v4, v9, v74
	v_fma_f32 v1, v5, v83, -v1
	v_mul_f32_e32 v5, v8, v74
	v_fmac_f32_e32 v2, v6, v79
	v_fma_f32 v3, v7, v79, -v3
	s_waitcnt vmcnt(5)
	v_mul_f32_e32 v6, v16, v72
	v_mul_f32_e32 v7, v15, v72
	v_fmac_f32_e32 v4, v8, v73
	v_fma_f32 v5, v9, v73, -v5
	v_fmac_f32_e32 v6, v15, v71
	v_fma_f32 v7, v16, v71, -v7
	s_waitcnt vmcnt(4)
	v_mul_f32_e32 v8, v20, v70
	v_mul_f32_e32 v9, v19, v70
	s_waitcnt vmcnt(2)
	v_mul_f32_e32 v15, v11, v76
	v_mul_f32_e32 v16, v10, v76
	v_fmac_f32_e32 v8, v19, v69
	s_waitcnt vmcnt(0)
	v_mul_f32_e32 v19, v18, v78
	v_mul_f32_e32 v23, v17, v78
	v_fma_f32 v9, v20, v69, -v9
	v_fmac_f32_e32 v15, v10, v75
	v_fma_f32 v16, v11, v75, -v16
	v_fmac_f32_e32 v19, v17, v77
	v_fma_f32 v20, v18, v77, -v23
	ds_write_b64 v91, v[0:1] offset:5616
	ds_write2_b64 v91, v[21:22], v[2:3] offset1:117
	ds_write_b64 v91, v[8:9] offset:1872
	ds_write2_b64 v14, v[4:5], v[15:16] offset0:84 offset1:201
	ds_write2_b64 v13, v[6:7], v[19:20] offset0:51 offset1:168
	v_mul_u32_u24_e32 v19, 3, v66
	v_sub_nc_u16 v20, v12, v29
	s_waitcnt lgkmcnt(0)
	s_barrier
	buffer_gl0_inv
	ds_read2_b64 v[0:3], v91 offset1:117
	ds_read2_b64 v[4:7], v27 offset0:106 offset1:223
	ds_read2_b64 v[8:11], v28 offset0:62 offset1:179
	;; [unrolled: 1-line block ×3, first 2 shown]
	v_lshlrev_b32_e32 v64, 3, v19
	v_and_b32_e32 v29, 0xff, v20
	ds_read_b64 v[19:20], v91 offset:7488
	v_mul_lo_u16 v21, v30, 3
	v_sub_nc_u16 v22, v66, v33
	v_mul_u32_u24_e32 v23, 3, v65
	s_waitcnt lgkmcnt(0)
	s_barrier
	v_sub_nc_u16 v32, v65, v21
	v_and_b32_e32 v33, 0xff, v22
	v_lshlrev_b32_e32 v63, 3, v23
	v_lshlrev_b32_e32 v21, 4, v29
	buffer_gl0_inv
	v_lshlrev_b16 v22, 1, v32
	v_lshlrev_b32_e32 v23, 4, v33
	v_mad_u16 v30, v30, 9, v32
	v_add_f32_e32 v24, v0, v6
	v_add_f32_e32 v34, v6, v8
	;; [unrolled: 1-line block ×4, first 2 shown]
	v_sub_f32_e32 v41, v16, v11
	v_add_f32_e32 v42, v3, v16
	v_add_f32_e32 v16, v16, v11
	;; [unrolled: 1-line block ×3, first 2 shown]
	v_sub_f32_e32 v45, v18, v20
	v_add_f32_e32 v46, v5, v18
	v_add_f32_e32 v18, v18, v20
	v_sub_f32_e32 v35, v7, v9
	v_add_f32_e32 v36, v1, v7
	v_sub_f32_e32 v38, v6, v8
	;; [unrolled: 2-line block ×3, first 2 shown]
	v_add_f32_e32 v15, v4, v17
	v_fma_f32 v0, -0.5, v34, v0
	v_fma_f32 v1, -0.5, v37, v1
	;; [unrolled: 1-line block ×3, first 2 shown]
	v_fmac_f32_e32 v3, -0.5, v16
	v_sub_f32_e32 v47, v17, v19
	v_fma_f32 v4, -0.5, v44, v4
	v_fmac_f32_e32 v5, -0.5, v18
	v_add_f32_e32 v6, v24, v8
	v_add_f32_e32 v7, v36, v9
	;; [unrolled: 1-line block ×4, first 2 shown]
	v_fmamk_f32 v15, v35, 0x3f5db3d7, v0
	v_fmamk_f32 v16, v38, 0xbf5db3d7, v1
	v_fmac_f32_e32 v0, 0xbf5db3d7, v35
	v_fmac_f32_e32 v1, 0x3f5db3d7, v38
	v_add_f32_e32 v9, v42, v11
	v_fmamk_f32 v17, v41, 0x3f5db3d7, v2
	v_fmamk_f32 v18, v43, 0xbf5db3d7, v3
	v_fmac_f32_e32 v2, 0xbf5db3d7, v41
	v_fmac_f32_e32 v3, 0x3f5db3d7, v43
	v_add_f32_e32 v11, v46, v20
	v_fmamk_f32 v19, v45, 0x3f5db3d7, v4
	v_fmamk_f32 v20, v47, 0xbf5db3d7, v5
	v_fmac_f32_e32 v4, 0xbf5db3d7, v45
	v_fmac_f32_e32 v5, 0x3f5db3d7, v47
	ds_write2_b64 v62, v[6:7], v[15:16] offset1:1
	ds_write_b64 v62, v[0:1] offset:16
	ds_write2_b64 v64, v[8:9], v[17:18] offset1:1
	ds_write_b64 v64, v[2:3] offset:16
	;; [unrolled: 2-line block ×3, first 2 shown]
	v_lshlrev_b32_sdwa v0, v25, v22 dst_sel:DWORD dst_unused:UNUSED_PAD src0_sel:DWORD src1_sel:WORD_0
	s_waitcnt lgkmcnt(0)
	s_barrier
	buffer_gl0_inv
	s_clause 0x2
	global_load_dwordx4 v[8:11], v21, s[14:15]
	global_load_dwordx4 v[4:7], v23, s[14:15]
	;; [unrolled: 1-line block ×3, first 2 shown]
	v_mov_b32_e32 v23, 9
	ds_read2_b64 v[15:18], v28 offset0:62 offset1:179
	ds_read2_b64 v[19:22], v14 offset0:84 offset1:201
	;; [unrolled: 1-line block ×3, first 2 shown]
	ds_read2_b64 v[44:47], v91 offset1:117
	v_mul_u32_u24_sdwa v26, v26, v23 dst_sel:DWORD dst_unused:UNUSED_PAD src0_sel:WORD_0 src1_sel:DWORD
	v_mul_u32_u24_sdwa v28, v31, v23 dst_sel:DWORD dst_unused:UNUSED_PAD src0_sel:WORD_0 src1_sel:DWORD
	ds_read_b64 v[23:24], v91 offset:7488
	v_lshlrev_b32_sdwa v95, v25, v30 dst_sel:DWORD dst_unused:UNUSED_PAD src0_sel:DWORD src1_sel:WORD_0
	s_waitcnt vmcnt(0) lgkmcnt(0)
	v_add_lshl_u32 v97, v26, v29, 3
	v_add_lshl_u32 v96, v28, v33, 3
	s_barrier
	buffer_gl0_inv
	v_mul_f32_e32 v12, v16, v11
	v_mul_f32_e32 v25, v15, v11
	;; [unrolled: 1-line block ×12, first 2 shown]
	v_fma_f32 v12, v15, v10, -v12
	v_fmac_f32_e32 v25, v16, v10
	v_fma_f32 v15, v17, v6, -v26
	v_fmac_f32_e32 v27, v18, v6
	;; [unrolled: 2-line block ×4, first 2 shown]
	v_fmac_f32_e32 v31, v22, v0
	v_fma_f32 v18, v23, v2, -v32
	v_fma_f32 v19, v42, v8, -v35
	v_fmac_f32_e32 v33, v24, v2
	v_sub_f32_e32 v20, v34, v25
	v_add_f32_e32 v21, v45, v34
	v_add_f32_e32 v22, v34, v25
	v_add_f32_e32 v24, v19, v12
	v_sub_f32_e32 v26, v29, v27
	v_add_f32_e32 v28, v47, v29
	v_add_f32_e32 v29, v29, v27
	v_add_f32_e32 v32, v16, v15
	;; [unrolled: 4-line block ×3, first 2 shown]
	v_add_f32_e32 v23, v44, v19
	v_sub_f32_e32 v19, v19, v12
	v_add_f32_e32 v30, v46, v16
	v_sub_f32_e32 v16, v16, v15
	;; [unrolled: 2-line block ×3, first 2 shown]
	v_fma_f32 v52, -0.5, v24, v44
	v_fma_f32 v53, -0.5, v22, v45
	;; [unrolled: 1-line block ×3, first 2 shown]
	v_fmac_f32_e32 v47, -0.5, v29
	v_fma_f32 v40, -0.5, v39, v40
	v_fmac_f32_e32 v41, -0.5, v31
	v_add_f32_e32 v37, v21, v25
	v_add_f32_e32 v36, v23, v12
	;; [unrolled: 1-line block ×6, first 2 shown]
	v_fmamk_f32 v38, v20, 0x3f5db3d7, v52
	v_fmac_f32_e32 v52, 0xbf5db3d7, v20
	v_fmamk_f32 v39, v19, 0xbf5db3d7, v53
	v_fmac_f32_e32 v53, 0x3f5db3d7, v19
	;; [unrolled: 2-line block ×6, first 2 shown]
	ds_write2_b64 v97, v[36:37], v[38:39] offset1:3
	ds_write_b64 v97, v[52:53] offset:48
	ds_write2_b64 v96, v[54:55], v[44:45] offset1:3
	ds_write_b64 v96, v[46:47] offset:48
	;; [unrolled: 2-line block ×3, first 2 shown]
	s_waitcnt lgkmcnt(0)
	s_barrier
	buffer_gl0_inv
	s_and_saveexec_b32 s0, vcc_lo
	s_cbranch_execz .LBB0_3
; %bb.2:
	v_add_nc_u32_e32 v12, 0x800, v91
	v_add_nc_u32_e32 v15, 0x1000, v91
	ds_read2_b64 v[36:39], v91 offset1:81
	ds_read2_b64 v[52:55], v91 offset0:162 offset1:243
	ds_read2_b64 v[48:51], v14 offset0:102 offset1:183
	;; [unrolled: 1-line block ×5, first 2 shown]
	ds_read_b64 v[60:61], v91 offset:7776
.LBB0_3:
	s_or_b32 exec_lo, exec_lo, s0
	v_and_b32_e32 v12, 0xff, v92
	v_mul_lo_u16 v12, v12, 57
	v_lshrrev_b16 v94, 9, v12
	v_mul_lo_u16 v12, v94, 9
	v_sub_nc_u16 v12, v92, v12
	v_and_b32_e32 v93, 0xff, v12
	v_mad_u64_u32 v[32:33], null, 0x60, v93, s[14:15]
	s_clause 0x5
	global_load_dwordx4 v[24:27], v[32:33], off offset:48
	global_load_dwordx4 v[20:23], v[32:33], off offset:64
	;; [unrolled: 1-line block ×6, first 2 shown]
	s_waitcnt vmcnt(0) lgkmcnt(0)
	s_barrier
	buffer_gl0_inv
	v_mul_f32_e32 v87, v39, v25
	v_mul_f32_e32 v108, v38, v25
	;; [unrolled: 1-line block ×13, first 2 shown]
	v_fmac_f32_e32 v106, v55, v20
	v_fma_f32 v55, v38, v24, -v87
	v_fmac_f32_e32 v108, v39, v24
	v_fmac_f32_e32 v101, v41, v14
	v_fma_f32 v41, v60, v34, -v118
	v_fmac_f32_e32 v98, v61, v34
	v_mul_f32_e32 v105, v44, v23
	v_mul_f32_e32 v115, v43, v29
	;; [unrolled: 1-line block ×4, first 2 shown]
	v_fma_f32 v110, v52, v26, -v88
	v_fmac_f32_e32 v107, v53, v26
	v_fmac_f32_e32 v100, v43, v28
	v_fma_f32 v43, v58, v32, -v117
	v_fmac_f32_e32 v67, v59, v32
	v_sub_f32_e32 v127, v55, v41
	v_sub_f32_e32 v125, v108, v98
	v_mul_f32_e32 v90, v45, v23
	v_mul_f32_e32 v111, v47, v17
	;; [unrolled: 1-line block ×3, first 2 shown]
	v_fma_f32 v109, v54, v20, -v89
	v_fmac_f32_e32 v105, v45, v22
	v_fma_f32 v45, v56, v30, -v116
	v_fmac_f32_e32 v99, v57, v30
	v_add_f32_e32 v38, v55, v41
	v_add_f32_e32 v39, v108, v98
	v_sub_f32_e32 v130, v110, v43
	v_sub_f32_e32 v126, v107, v67
	v_mul_f32_e32 v121, 0xbeedf032, v125
	v_mul_f32_e32 v124, 0xbeedf032, v127
	;; [unrolled: 1-line block ×9, first 2 shown]
	v_fma_f32 v54, v44, v22, -v90
	v_fma_f32 v53, v46, v16, -v111
	v_fmac_f32_e32 v104, v47, v16
	v_fma_f32 v47, v40, v14, -v114
	v_fma_f32 v46, v42, v28, -v115
	v_add_f32_e32 v40, v110, v43
	v_add_f32_e32 v42, v107, v67
	v_sub_f32_e32 v129, v106, v99
	v_sub_f32_e32 v143, v109, v45
	v_mul_f32_e32 v119, 0xbf52af12, v126
	v_mul_f32_e32 v123, 0xbf52af12, v130
	;; [unrolled: 1-line block ×8, first 2 shown]
	v_fmamk_f32 v56, v38, 0x3f62ad3f, v121
	v_fma_f32 v57, 0x3f62ad3f, v39, -v124
	v_fmamk_f32 v177, v38, 0x3f116cb1, v132
	v_fma_f32 v179, 0x3f116cb1, v39, -v142
	;; [unrolled: 2-line block ×4, first 2 shown]
	v_mul_f32_e32 v112, v49, v19
	v_mul_f32_e32 v113, v51, v13
	;; [unrolled: 1-line block ×3, first 2 shown]
	v_fmac_f32_e32 v103, v49, v18
	v_add_f32_e32 v44, v109, v45
	v_add_f32_e32 v49, v106, v99
	v_sub_f32_e32 v140, v105, v100
	v_sub_f32_e32 v147, v54, v46
	v_mul_f32_e32 v117, 0xbf7e222b, v129
	v_mul_f32_e32 v122, 0xbf7e222b, v143
	;; [unrolled: 1-line block ×8, first 2 shown]
	v_fmamk_f32 v58, v40, 0x3f116cb1, v119
	v_fma_f32 v59, 0x3f116cb1, v42, -v123
	v_fmamk_f32 v178, v40, 0xbeb58ec6, v131
	v_fma_f32 v180, 0xbeb58ec6, v42, -v141
	;; [unrolled: 2-line block ×4, first 2 shown]
	v_add_f32_e32 v56, v36, v56
	v_add_f32_e32 v57, v37, v57
	;; [unrolled: 1-line block ×8, first 2 shown]
	v_fma_f32 v52, v48, v18, -v112
	v_fma_f32 v48, v50, v12, -v113
	v_fmac_f32_e32 v102, v51, v12
	v_add_f32_e32 v50, v54, v46
	v_add_f32_e32 v51, v105, v100
	v_sub_f32_e32 v145, v104, v101
	v_sub_f32_e32 v152, v53, v47
	v_mul_f32_e32 v115, 0xbf6f5d39, v140
	v_mul_f32_e32 v120, 0xbf6f5d39, v147
	;; [unrolled: 1-line block ×8, first 2 shown]
	v_fmamk_f32 v87, v44, 0x3df6dbef, v117
	v_fma_f32 v88, 0x3df6dbef, v49, -v122
	v_fmamk_f32 v181, v44, 0xbf788fa5, v133
	v_fma_f32 v182, 0xbf788fa5, v49, -v137
	;; [unrolled: 2-line block ×4, first 2 shown]
	v_add_f32_e32 v56, v58, v56
	v_add_f32_e32 v57, v59, v57
	;; [unrolled: 1-line block ×10, first 2 shown]
	v_sub_f32_e32 v149, v103, v102
	v_sub_f32_e32 v157, v52, v48
	v_mul_f32_e32 v114, 0xbf29c268, v145
	v_mul_f32_e32 v118, 0xbf29c268, v152
	;; [unrolled: 1-line block ×8, first 2 shown]
	v_fmamk_f32 v89, v50, 0xbeb58ec6, v115
	v_fma_f32 v90, 0xbeb58ec6, v51, -v120
	v_fmamk_f32 v183, v50, 0xbf3f9e67, v134
	v_fma_f32 v184, 0xbf3f9e67, v51, -v138
	;; [unrolled: 2-line block ×4, first 2 shown]
	v_add_f32_e32 v56, v87, v56
	v_add_f32_e32 v57, v88, v57
	;; [unrolled: 1-line block ×10, first 2 shown]
	v_mul_f32_e32 v113, 0xbe750f2a, v149
	v_mul_f32_e32 v116, 0xbe750f2a, v157
	;; [unrolled: 1-line block ×8, first 2 shown]
	v_fmamk_f32 v173, v60, 0xbf3f9e67, v114
	v_fma_f32 v174, 0xbf3f9e67, v61, -v118
	v_fmamk_f32 v185, v60, 0x3df6dbef, v135
	v_fma_f32 v186, 0x3df6dbef, v61, -v139
	v_fmamk_f32 v193, v60, 0x3f116cb1, v146
	v_fma_f32 v199, 0x3f116cb1, v61, -v155
	v_fmamk_f32 v209, v60, 0xbf788fa5, v163
	v_fma_f32 v210, 0xbf788fa5, v61, -v170
	v_add_f32_e32 v56, v89, v56
	v_add_f32_e32 v57, v90, v57
	;; [unrolled: 1-line block ×8, first 2 shown]
	v_fmamk_f32 v175, v111, 0xbf788fa5, v113
	v_fma_f32 v176, 0xbf788fa5, v112, -v116
	v_fmamk_f32 v187, v111, 0x3f62ad3f, v128
	v_fma_f32 v188, 0x3f62ad3f, v112, -v136
	;; [unrolled: 2-line block ×4, first 2 shown]
	v_add_f32_e32 v56, v173, v56
	v_add_f32_e32 v57, v174, v57
	;; [unrolled: 1-line block ×16, first 2 shown]
	s_and_saveexec_b32 s0, vcc_lo
	s_cbranch_execz .LBB0_5
; %bb.4:
	v_mul_f32_e32 v213, 0xbe750f2a, v127
	v_mul_f32_e32 v218, 0x3eedf032, v130
	v_mul_f32_e32 v222, 0xbf29c268, v143
	v_mul_f32_e32 v225, 0xbe750f2a, v125
	v_mul_f32_e32 v226, 0x3f52af12, v147
	v_fmamk_f32 v173, v39, 0xbf788fa5, v213
	v_fmamk_f32 v174, v42, 0x3f62ad3f, v218
	v_mul_f32_e32 v229, 0x3eedf032, v126
	v_fma_f32 v228, 0xbf788fa5, v38, -v225
	v_mul_f32_e32 v230, 0xbf6f5d39, v152
	v_add_f32_e32 v173, v37, v173
	v_mul_f32_e32 v232, 0xbf29c268, v129
	v_fma_f32 v231, 0x3f62ad3f, v40, -v229
	v_add_f32_e32 v228, v36, v228
	v_add_f32_e32 v55, v36, v55
	;; [unrolled: 1-line block ×3, first 2 shown]
	v_fmamk_f32 v174, v49, 0xbf3f9e67, v222
	v_add_f32_e32 v108, v37, v108
	v_mul_f32_e32 v233, 0x3f7e222b, v157
	v_add_f32_e32 v228, v231, v228
	v_fma_f32 v231, 0xbf3f9e67, v44, -v232
	v_add_f32_e32 v173, v174, v173
	v_fmamk_f32 v174, v51, 0x3f116cb1, v226
	v_mul_f32_e32 v234, 0x3f52af12, v140
	v_add_f32_e32 v55, v55, v110
	v_add_f32_e32 v107, v108, v107
	v_mul_f32_e32 v127, 0xbf29c268, v127
	v_add_f32_e32 v173, v174, v173
	v_fmamk_f32 v174, v61, 0xbeb58ec6, v230
	v_add_f32_e32 v228, v231, v228
	v_fma_f32 v231, 0x3f116cb1, v50, -v234
	v_mul_f32_e32 v235, 0xbf6f5d39, v145
	v_mul_f32_e32 v176, 0x3f62ad3f, v39
	v_add_f32_e32 v173, v174, v173
	v_fmamk_f32 v174, v112, 0x3df6dbef, v233
	v_add_f32_e32 v55, v55, v109
	v_add_f32_e32 v106, v107, v106
	v_mul_f32_e32 v236, 0x3f7e222b, v130
	v_add_f32_e32 v130, v231, v228
	v_add_f32_e32 v174, v174, v173
	v_fmamk_f32 v173, v39, 0xbf3f9e67, v127
	v_fma_f32 v228, 0xbeb58ec6, v60, -v235
	v_mul_f32_e32 v231, 0x3f7e222b, v149
	v_mul_f32_e32 v175, 0x3f62ad3f, v38
	;; [unrolled: 1-line block ×3, first 2 shown]
	v_add_f32_e32 v124, v124, v176
	v_add_f32_e32 v54, v55, v54
	;; [unrolled: 1-line block ×4, first 2 shown]
	v_fmamk_f32 v237, v42, 0x3df6dbef, v236
	v_mul_f32_e32 v143, 0xbf52af12, v143
	v_add_f32_e32 v130, v228, v130
	v_fma_f32 v228, 0x3df6dbef, v111, -v231
	v_mul_f32_e32 v238, 0xbf29c268, v125
	v_mul_f32_e32 v183, 0x3f116cb1, v40
	v_mul_f32_e32 v192, 0x3df6dbef, v49
	v_add_f32_e32 v108, v37, v124
	v_add_f32_e32 v123, v123, v184
	v_sub_f32_e32 v107, v175, v121
	v_add_f32_e32 v53, v54, v53
	v_add_f32_e32 v55, v105, v104
	;; [unrolled: 1-line block ×3, first 2 shown]
	v_fmamk_f32 v237, v49, 0x3f116cb1, v143
	v_mul_f32_e32 v147, 0x3e750f2a, v147
	v_add_f32_e32 v173, v228, v130
	v_fma_f32 v130, 0xbf3f9e67, v38, -v238
	v_mul_f32_e32 v228, 0x3f7e222b, v126
	v_mul_f32_e32 v191, 0x3df6dbef, v44
	;; [unrolled: 1-line block ×3, first 2 shown]
	v_add_f32_e32 v108, v123, v108
	v_add_f32_e32 v110, v122, v192
	;; [unrolled: 1-line block ×3, first 2 shown]
	v_sub_f32_e32 v107, v183, v119
	v_add_f32_e32 v52, v53, v52
	v_add_f32_e32 v54, v55, v103
	v_mul_f32_e32 v180, 0x3df6dbef, v39
	v_add_f32_e32 v125, v237, v125
	v_fmamk_f32 v126, v51, 0xbf788fa5, v147
	v_mul_f32_e32 v152, 0x3eedf032, v152
	v_add_f32_e32 v130, v36, v130
	v_fma_f32 v237, 0x3df6dbef, v40, -v228
	v_mul_f32_e32 v239, 0xbf52af12, v129
	v_mul_f32_e32 v199, 0xbeb58ec6, v50
	;; [unrolled: 1-line block ×3, first 2 shown]
	v_add_f32_e32 v108, v110, v108
	v_add_f32_e32 v104, v120, v200
	v_add_f32_e32 v105, v107, v106
	v_sub_f32_e32 v106, v191, v117
	v_add_f32_e32 v52, v52, v48
	v_add_f32_e32 v53, v54, v102
	v_mul_f32_e32 v188, 0xbf788fa5, v42
	v_add_f32_e32 v160, v160, v180
	v_add_f32_e32 v125, v126, v125
	v_fmamk_f32 v126, v61, 0x3f62ad3f, v152
	v_mul_f32_e32 v157, 0xbf6f5d39, v157
	v_add_f32_e32 v129, v237, v130
	v_fma_f32 v130, 0x3f116cb1, v44, -v239
	v_mul_f32_e32 v140, 0x3e750f2a, v140
	v_mul_f32_e32 v207, 0xbf3f9e67, v60
	v_mul_f32_e32 v217, 0xbf788fa5, v112
	v_add_f32_e32 v55, v104, v108
	v_add_f32_e32 v103, v118, v208
	;; [unrolled: 1-line block ×3, first 2 shown]
	v_sub_f32_e32 v54, v199, v115
	v_add_f32_e32 v47, v52, v47
	v_mul_f32_e32 v178, 0x3f116cb1, v39
	v_mul_f32_e32 v182, 0xbeb58ec6, v39
	v_add_f32_e32 v53, v53, v101
	v_mul_f32_e32 v177, 0x3f116cb1, v38
	v_mul_f32_e32 v179, 0x3df6dbef, v38
	v_mul_f32_e32 v196, 0xbeb58ec6, v49
	v_add_f32_e32 v160, v37, v160
	v_add_f32_e32 v159, v159, v188
	v_mul_f32_e32 v181, 0xbeb58ec6, v38
	v_add_f32_e32 v125, v126, v125
	v_fmamk_f32 v126, v112, 0xbeb58ec6, v157
	v_add_f32_e32 v129, v130, v129
	v_fma_f32 v130, 0xbf788fa5, v50, -v140
	v_mul_f32_e32 v216, 0xbf788fa5, v111
	v_add_f32_e32 v55, v103, v55
	v_add_f32_e32 v102, v116, v217
	;; [unrolled: 1-line block ×3, first 2 shown]
	v_sub_f32_e32 v101, v207, v114
	v_add_f32_e32 v46, v47, v46
	v_add_f32_e32 v172, v172, v182
	;; [unrolled: 1-line block ×4, first 2 shown]
	v_fma_f32 v53, 0xbf788fa5, v39, -v213
	v_fma_f32 v39, 0xbf3f9e67, v39, -v127
	v_mul_f32_e32 v185, 0xbeb58ec6, v40
	v_mul_f32_e32 v186, 0xbeb58ec6, v42
	;; [unrolled: 1-line block ×4, first 2 shown]
	v_sub_f32_e32 v154, v179, v154
	v_add_f32_e32 v159, v159, v160
	v_add_f32_e32 v158, v158, v196
	v_sub_f32_e32 v132, v177, v132
	v_mul_f32_e32 v189, 0xbf3f9e67, v40
	v_mul_f32_e32 v190, 0xbf3f9e67, v42
	v_add_f32_e32 v126, v126, v125
	v_add_f32_e32 v125, v130, v129
	v_sub_f32_e32 v129, v181, v165
	v_add_f32_e32 v48, v102, v55
	v_add_f32_e32 v54, v101, v54
	v_sub_f32_e32 v55, v216, v113
	v_add_f32_e32 v45, v46, v45
	v_fmac_f32_e32 v225, 0xbf788fa5, v38
	v_fmac_f32_e32 v238, 0xbf3f9e67, v38
	v_add_f32_e32 v172, v37, v172
	v_add_f32_e32 v142, v37, v142
	;; [unrolled: 1-line block ×4, first 2 shown]
	v_fma_f32 v39, 0x3df6dbef, v42, -v236
	v_mul_f32_e32 v193, 0xbf788fa5, v44
	v_mul_f32_e32 v194, 0xbf788fa5, v49
	;; [unrolled: 1-line block ×4, first 2 shown]
	v_add_f32_e32 v154, v36, v154
	v_sub_f32_e32 v153, v187, v153
	v_add_f32_e32 v158, v158, v159
	v_add_f32_e32 v156, v156, v204
	;; [unrolled: 1-line block ×4, first 2 shown]
	v_sub_f32_e32 v131, v185, v131
	v_mul_f32_e32 v197, 0x3f62ad3f, v44
	v_mul_f32_e32 v198, 0x3f62ad3f, v49
	v_add_f32_e32 v171, v171, v190
	v_add_f32_e32 v129, v36, v129
	v_sub_f32_e32 v164, v189, v164
	v_add_f32_e32 v52, v52, v99
	v_fma_f32 v99, 0x3f62ad3f, v42, -v218
	v_add_f32_e32 v47, v55, v54
	v_add_f32_e32 v43, v45, v43
	;; [unrolled: 1-line block ×3, first 2 shown]
	v_fmac_f32_e32 v229, 0x3f62ad3f, v40
	v_add_f32_e32 v36, v36, v238
	v_fmac_f32_e32 v228, 0x3df6dbef, v40
	v_add_f32_e32 v37, v39, v37
	v_fma_f32 v39, 0x3f116cb1, v49, -v143
	v_mul_f32_e32 v201, 0xbf3f9e67, v50
	v_mul_f32_e32 v202, 0xbf3f9e67, v51
	;; [unrolled: 1-line block ×4, first 2 shown]
	v_add_f32_e32 v153, v153, v154
	v_sub_f32_e32 v150, v195, v150
	v_add_f32_e32 v154, v156, v158
	v_add_f32_e32 v155, v155, v212
	;; [unrolled: 1-line block ×5, first 2 shown]
	v_sub_f32_e32 v132, v193, v133
	v_mul_f32_e32 v205, 0x3df6dbef, v50
	v_mul_f32_e32 v206, 0x3df6dbef, v51
	v_add_f32_e32 v130, v171, v172
	v_add_f32_e32 v165, v168, v198
	;; [unrolled: 1-line block ×3, first 2 shown]
	v_sub_f32_e32 v164, v197, v166
	v_add_f32_e32 v46, v52, v67
	v_add_f32_e32 v52, v99, v53
	v_fma_f32 v53, 0xbf3f9e67, v49, -v222
	v_add_f32_e32 v45, v43, v41
	v_add_f32_e32 v41, v229, v54
	v_fmac_f32_e32 v232, 0xbf3f9e67, v44
	v_add_f32_e32 v36, v228, v36
	v_fmac_f32_e32 v239, 0x3f116cb1, v44
	v_add_f32_e32 v37, v39, v37
	v_fma_f32 v39, 0xbf788fa5, v51, -v147
	v_mul_f32_e32 v209, 0x3df6dbef, v60
	v_mul_f32_e32 v210, 0x3df6dbef, v61
	;; [unrolled: 1-line block ×3, first 2 shown]
	v_add_f32_e32 v150, v150, v153
	v_sub_f32_e32 v148, v203, v148
	v_add_f32_e32 v142, v155, v154
	v_add_f32_e32 v137, v137, v141
	;; [unrolled: 1-line block ×5, first 2 shown]
	v_sub_f32_e32 v134, v201, v134
	v_mul_f32_e32 v214, 0xbf788fa5, v60
	v_mul_f32_e32 v215, 0xbf788fa5, v61
	;; [unrolled: 1-line block ×3, first 2 shown]
	v_add_f32_e32 v130, v165, v130
	v_add_f32_e32 v165, v169, v206
	;; [unrolled: 1-line block ×3, first 2 shown]
	v_sub_f32_e32 v162, v205, v162
	v_add_f32_e32 v52, v53, v52
	v_fma_f32 v53, 0x3f116cb1, v51, -v226
	v_add_f32_e32 v38, v232, v41
	v_fmac_f32_e32 v234, 0x3f116cb1, v50
	v_add_f32_e32 v36, v239, v36
	v_fmac_f32_e32 v140, 0xbf788fa5, v50
	v_add_f32_e32 v37, v39, v37
	v_mov_b32_e32 v39, 0x75
	v_mul_f32_e32 v219, 0x3f62ad3f, v111
	v_mul_f32_e32 v220, 0x3f62ad3f, v112
	;; [unrolled: 1-line block ×3, first 2 shown]
	v_add_f32_e32 v148, v148, v150
	v_sub_f32_e32 v141, v211, v146
	v_add_f32_e32 v137, v138, v137
	v_add_f32_e32 v138, v139, v210
	;; [unrolled: 1-line block ×4, first 2 shown]
	v_sub_f32_e32 v135, v209, v135
	v_mul_f32_e32 v224, 0x3f116cb1, v111
	v_mul_f32_e32 v227, 0x3f116cb1, v112
	v_fma_f32 v168, 0x3f62ad3f, v60, -v145
	v_mul_f32_e32 v149, 0xbf6f5d39, v149
	v_add_f32_e32 v130, v165, v130
	v_add_f32_e32 v165, v170, v215
	;; [unrolled: 1-line block ×3, first 2 shown]
	v_sub_f32_e32 v162, v214, v163
	v_add_f32_e32 v43, v53, v52
	v_fma_f32 v52, 0xbeb58ec6, v61, -v230
	v_add_f32_e32 v38, v234, v38
	v_fmac_f32_e32 v235, 0xbeb58ec6, v60
	v_fma_f32 v42, 0x3f62ad3f, v61, -v152
	v_add_f32_e32 v36, v140, v36
	v_fmac_f32_e32 v145, 0x3f62ad3f, v60
	v_mul_u32_u24_sdwa v39, v94, v39 dst_sel:DWORD dst_unused:UNUSED_PAD src0_sel:WORD_0 src1_sel:DWORD
	v_add_f32_e32 v139, v141, v148
	v_sub_f32_e32 v141, v221, v144
	v_add_f32_e32 v137, v138, v137
	v_add_f32_e32 v136, v136, v220
	;; [unrolled: 1-line block ×3, first 2 shown]
	v_sub_f32_e32 v128, v219, v128
	v_add_f32_e32 v125, v168, v125
	v_fma_f32 v168, 0xbeb58ec6, v111, -v149
	v_add_f32_e32 v130, v165, v130
	v_add_f32_e32 v164, v167, v227
	;; [unrolled: 1-line block ×3, first 2 shown]
	v_sub_f32_e32 v160, v224, v161
	v_add_f32_e32 v40, v52, v43
	v_fma_f32 v41, 0x3df6dbef, v112, -v233
	v_add_f32_e32 v38, v235, v38
	v_fmac_f32_e32 v231, 0x3df6dbef, v111
	v_add_f32_e32 v42, v42, v37
	v_fma_f32 v43, 0xbeb58ec6, v112, -v157
	v_add_f32_e32 v44, v145, v36
	v_fmac_f32_e32 v149, 0xbeb58ec6, v111
	v_add_f32_e32 v46, v46, v98
	v_add_lshl_u32 v49, v39, v93, 3
	v_add_f32_e32 v131, v141, v139
	v_add_f32_e32 v134, v136, v137
	;; [unrolled: 1-line block ×10, first 2 shown]
	ds_write2_b64 v49, v[45:46], v[47:48] offset1:9
	ds_write2_b64 v49, v[133:134], v[131:132] offset0:18 offset1:27
	ds_write2_b64 v49, v[129:130], v[125:126] offset0:36 offset1:45
	ds_write2_b64 v49, v[173:174], v[36:37] offset0:54 offset1:63
	ds_write2_b64 v49, v[38:39], v[87:88] offset0:72 offset1:81
	ds_write2_b64 v49, v[56:57], v[58:59] offset0:90 offset1:99
	ds_write_b64 v49, v[89:90] offset:864
.LBB0_5:
	s_or_b32 exec_lo, exec_lo, s0
	v_mov_b32_e32 v40, 0x8c09
	v_lshlrev_b32_e32 v61, 4, v92
	s_waitcnt lgkmcnt(0)
	s_barrier
	buffer_gl0_inv
	v_mul_u32_u24_sdwa v40, v65, v40 dst_sel:DWORD dst_unused:UNUSED_PAD src0_sel:WORD_0 src1_sel:DWORD
	global_load_dwordx4 v[36:39], v61, s[14:15] offset:912
	v_add_nc_u32_e32 v60, 0x400, v91
	v_add_nc_u32_e32 v67, 0x1400, v91
	;; [unrolled: 1-line block ×3, first 2 shown]
	v_lshrrev_b32_e32 v40, 22, v40
	ds_read2_b64 v[44:47], v91 offset1:117
	ds_read_b64 v[104:105], v91 offset:7488
	v_lshlrev_b32_e32 v66, 4, v66
	v_mov_b32_e32 v106, 3
	v_mul_lo_u16 v40, 0x75, v40
	v_sub_nc_u16 v98, v65, v40
	v_lshlrev_b32_e32 v65, 4, v65
	v_lshlrev_b16 v40, 4, v98
	v_lshlrev_b32_sdwa v98, v106, v98 dst_sel:DWORD dst_unused:UNUSED_PAD src0_sel:DWORD src1_sel:WORD_0
	v_and_b32_e32 v40, 0xffff, v40
	v_add_co_u32 v40, s0, s14, v40
	v_add_co_ci_u32_e64 v41, null, s15, 0, s0
	v_add_co_u32 v61, s0, s14, v61
	v_add_co_ci_u32_e64 v107, null, s15, 0, s0
	global_load_dwordx4 v[40:43], v[40:41], off offset:912
	ds_read2_b64 v[48:51], v60 offset0:106 offset1:223
	ds_read2_b64 v[52:55], v67 offset0:62 offset1:179
	;; [unrolled: 1-line block ×3, first 2 shown]
	v_add_co_u32 v108, s0, s14, v66
	v_add_co_ci_u32_e64 v109, null, s15, 0, s0
	v_add_co_u32 v110, s0, s14, v65
	v_add_co_ci_u32_e64 v111, null, s15, 0, s0
	v_add_co_u32 v65, s0, 0x800, v61
	v_add_co_ci_u32_e64 v66, s0, 0, v107, s0
	v_add_co_u32 v106, s0, 0x800, v108
	v_add_co_ci_u32_e64 v107, s0, 0, v109, s0
	v_add_nc_u32_e32 v61, 0x1400, v98
	s_waitcnt vmcnt(0) lgkmcnt(0)
	s_barrier
	buffer_gl0_inv
	v_mul_f32_e32 v109, v50, v37
	v_mul_f32_e32 v113, v52, v39
	;; [unrolled: 1-line block ×5, first 2 shown]
	v_fmac_f32_e32 v109, v51, v36
	v_fmac_f32_e32 v113, v53, v38
	v_mul_f32_e32 v115, v100, v37
	v_mul_f32_e32 v116, v55, v39
	;; [unrolled: 1-line block ×3, first 2 shown]
	v_fma_f32 v50, v50, v36, -v108
	v_fma_f32 v51, v52, v38, -v112
	v_fma_f32 v52, v100, v36, -v114
	v_add_f32_e32 v108, v109, v113
	v_fmac_f32_e32 v115, v101, v36
	v_fma_f32 v53, v54, v38, -v116
	v_fmac_f32_e32 v117, v55, v38
	v_add_f32_e32 v54, v44, v50
	v_add_f32_e32 v55, v50, v51
	v_sub_f32_e32 v100, v109, v113
	v_add_f32_e32 v101, v45, v109
	v_sub_f32_e32 v109, v50, v51
	v_add_f32_e32 v112, v46, v52
	v_fma_f32 v45, -0.5, v108, v45
	v_add_f32_e32 v114, v52, v53
	v_sub_f32_e32 v119, v52, v53
	v_add_f32_e32 v50, v54, v51
	v_fma_f32 v44, -0.5, v55, v44
	v_add_f32_e32 v51, v101, v113
	v_add_f32_e32 v52, v112, v53
	v_fmamk_f32 v55, v109, 0xbf5db3d7, v45
	v_fmac_f32_e32 v45, 0x3f5db3d7, v109
	v_sub_f32_e32 v116, v115, v117
	v_add_f32_e32 v118, v47, v115
	v_add_f32_e32 v115, v115, v117
	v_fma_f32 v46, -0.5, v114, v46
	v_fmamk_f32 v54, v100, 0x3f5db3d7, v44
	v_mul_f32_e32 v101, v103, v41
	v_mul_f32_e32 v108, v105, v43
	;; [unrolled: 1-line block ×4, first 2 shown]
	v_fmac_f32_e32 v47, -0.5, v115
	v_fma_f32 v102, v102, v40, -v101
	v_fma_f32 v104, v104, v42, -v108
	v_fmac_f32_e32 v109, v103, v40
	v_fmac_f32_e32 v112, v105, v42
	v_add_f32_e32 v53, v118, v117
	v_add_f32_e32 v105, v48, v102
	;; [unrolled: 1-line block ×3, first 2 shown]
	v_sub_f32_e32 v114, v102, v104
	v_add_f32_e32 v108, v109, v112
	v_sub_f32_e32 v113, v109, v112
	v_add_f32_e32 v109, v49, v109
	v_fma_f32 v48, -0.5, v103, v48
	v_fmac_f32_e32 v44, 0xbf5db3d7, v100
	v_fmac_f32_e32 v49, -0.5, v108
	v_fmamk_f32 v100, v116, 0x3f5db3d7, v46
	v_fmac_f32_e32 v46, 0xbf5db3d7, v116
	v_fmamk_f32 v101, v119, 0xbf5db3d7, v47
	v_fmac_f32_e32 v47, 0x3f5db3d7, v119
	v_add_f32_e32 v102, v105, v104
	v_add_f32_e32 v103, v109, v112
	v_fmamk_f32 v104, v113, 0x3f5db3d7, v48
	v_fmamk_f32 v105, v114, 0xbf5db3d7, v49
	v_fmac_f32_e32 v48, 0xbf5db3d7, v113
	v_fmac_f32_e32 v49, 0x3f5db3d7, v114
	ds_write2_b64 v91, v[50:51], v[54:55] offset1:117
	ds_write2_b64 v60, v[44:45], v[52:53] offset0:106 offset1:223
	ds_write2_b64 v99, v[100:101], v[46:47] offset0:84 offset1:201
	;; [unrolled: 1-line block ×3, first 2 shown]
	ds_write_b64 v98, v[48:49] offset:7488
	v_add_co_u32 v44, s0, 0x800, v110
	s_waitcnt lgkmcnt(0)
	s_barrier
	buffer_gl0_inv
	global_load_dwordx4 v[52:55], v[65:66], off offset:736
	v_add_co_ci_u32_e64 v45, s0, 0, v111, s0
	s_clause 0x1
	global_load_dwordx4 v[48:51], v[106:107], off offset:736
	global_load_dwordx4 v[44:47], v[44:45], off offset:736
	ds_read2_b64 v[101:104], v60 offset0:106 offset1:223
	ds_read2_b64 v[105:108], v67 offset0:62 offset1:179
	;; [unrolled: 1-line block ×3, first 2 shown]
	ds_read_b64 v[65:66], v91 offset:7488
	ds_read2_b64 v[113:116], v91 offset1:117
	v_lshlrev_b32_e32 v61, 3, v92
	v_add_nc_u32_e32 v100, 0x1800, v91
	v_add_co_u32 v61, s0, s12, v61
	v_add_co_ci_u32_e64 v121, null, s13, 0, s0
	v_add_co_u32 v117, s0, 0x2000, v61
	v_add_co_ci_u32_e64 v118, s0, 0, v121, s0
	s_waitcnt vmcnt(2) lgkmcnt(4)
	v_mul_f32_e32 v119, v104, v53
	v_mul_f32_e32 v120, v103, v53
	s_waitcnt lgkmcnt(3)
	v_mul_f32_e32 v122, v106, v55
	v_mul_f32_e32 v123, v105, v55
	s_waitcnt vmcnt(1) lgkmcnt(2)
	v_mul_f32_e32 v124, v110, v49
	v_mul_f32_e32 v125, v109, v49
	;; [unrolled: 1-line block ×4, first 2 shown]
	s_waitcnt vmcnt(0)
	v_mul_f32_e32 v128, v112, v45
	v_mul_f32_e32 v129, v111, v45
	s_waitcnt lgkmcnt(1)
	v_mul_f32_e32 v130, v66, v47
	v_mul_f32_e32 v131, v65, v47
	v_fma_f32 v103, v103, v52, -v119
	v_fmac_f32_e32 v120, v104, v52
	v_fma_f32 v104, v105, v54, -v122
	v_fmac_f32_e32 v123, v106, v54
	;; [unrolled: 2-line block ×6, first 2 shown]
	s_waitcnt lgkmcnt(0)
	v_add_f32_e32 v65, v113, v103
	v_add_f32_e32 v66, v103, v104
	;; [unrolled: 1-line block ×3, first 2 shown]
	v_sub_f32_e32 v110, v120, v123
	v_add_f32_e32 v109, v114, v120
	v_add_f32_e32 v120, v105, v106
	v_sub_f32_e32 v122, v125, v127
	v_add_f32_e32 v124, v116, v125
	v_add_f32_e32 v125, v125, v127
	;; [unrolled: 1-line block ×3, first 2 shown]
	v_sub_f32_e32 v132, v129, v131
	v_add_f32_e32 v133, v102, v129
	v_add_f32_e32 v129, v129, v131
	v_sub_f32_e32 v112, v103, v104
	v_add_f32_e32 v65, v65, v104
	v_fma_f32 v103, -0.5, v66, v113
	v_fma_f32 v104, -0.5, v111, v114
	v_add_f32_e32 v119, v115, v105
	v_add_f32_e32 v128, v101, v107
	v_sub_f32_e32 v126, v105, v106
	v_sub_f32_e32 v134, v107, v108
	v_fma_f32 v115, -0.5, v120, v115
	v_fmac_f32_e32 v116, -0.5, v125
	v_fma_f32 v101, -0.5, v130, v101
	v_fmac_f32_e32 v102, -0.5, v129
	v_add_f32_e32 v66, v109, v123
	v_fmamk_f32 v109, v110, 0x3f5db3d7, v103
	v_fmac_f32_e32 v103, 0xbf5db3d7, v110
	v_fmamk_f32 v110, v112, 0xbf5db3d7, v104
	v_fmac_f32_e32 v104, 0x3f5db3d7, v112
	v_add_f32_e32 v105, v119, v106
	v_add_f32_e32 v106, v124, v127
	;; [unrolled: 1-line block ×4, first 2 shown]
	v_fmamk_f32 v111, v122, 0x3f5db3d7, v115
	v_fmamk_f32 v112, v126, 0xbf5db3d7, v116
	;; [unrolled: 1-line block ×4, first 2 shown]
	v_fmac_f32_e32 v115, 0xbf5db3d7, v122
	v_fmac_f32_e32 v116, 0x3f5db3d7, v126
	;; [unrolled: 1-line block ×4, first 2 shown]
	ds_write_b64 v91, v[109:110] offset:2808
	ds_write_b64 v91, v[103:104] offset:5616
	ds_write2_b64 v91, v[65:66], v[105:106] offset1:117
	ds_write_b64 v91, v[107:108] offset:1872
	ds_write2_b64 v99, v[111:112], v[113:114] offset0:84 offset1:201
	ds_write2_b64 v100, v[115:116], v[101:102] offset0:51 offset1:168
	s_waitcnt lgkmcnt(0)
	s_barrier
	buffer_gl0_inv
	global_load_dwordx2 v[65:66], v[117:118], off offset:232
	v_add_co_u32 v101, s0, 0x20e8, v61
	v_add_co_ci_u32_e64 v102, s0, 0, v121, s0
	v_add_co_u32 v103, s0, 0x3800, v61
	v_add_co_ci_u32_e64 v104, s0, 0, v121, s0
	v_add_co_u32 v105, s0, 0x2800, v61
	s_clause 0x1
	global_load_dwordx2 v[117:118], v[101:102], off offset:936
	global_load_dwordx2 v[119:120], v[103:104], off offset:1576
	v_add_co_ci_u32_e64 v106, s0, 0, v121, s0
	v_add_co_u32 v107, s0, 0x3000, v61
	v_add_co_ci_u32_e64 v108, s0, 0, v121, s0
	s_clause 0x5
	global_load_dwordx2 v[121:122], v[105:106], off offset:992
	global_load_dwordx2 v[123:124], v[107:108], off offset:1752
	;; [unrolled: 1-line block ×6, first 2 shown]
	ds_read2_b64 v[101:104], v91 offset1:117
	ds_read_b64 v[133:134], v91 offset:7488
	s_waitcnt vmcnt(8) lgkmcnt(1)
	v_mul_f32_e32 v61, v102, v66
	v_mul_f32_e32 v106, v101, v66
	v_fma_f32 v105, v101, v65, -v61
	v_fmac_f32_e32 v106, v102, v65
	v_add_nc_u32_e32 v101, 0x800, v91
	v_add_nc_u32_e32 v102, 0x1000, v91
	ds_write_b64 v91, v[105:106]
	ds_read2_b64 v[105:108], v60 offset0:106 offset1:223
	ds_read2_b64 v[109:112], v67 offset0:62 offset1:179
	;; [unrolled: 1-line block ×3, first 2 shown]
	s_waitcnt vmcnt(7)
	v_mul_f32_e32 v61, v104, v118
	v_mul_f32_e32 v66, v103, v118
	s_waitcnt vmcnt(6) lgkmcnt(4)
	v_mul_f32_e32 v135, v134, v120
	v_mul_f32_e32 v118, v133, v120
	v_fma_f32 v65, v103, v117, -v61
	v_fmac_f32_e32 v66, v104, v117
	v_fma_f32 v117, v133, v119, -v135
	v_fmac_f32_e32 v118, v134, v119
	s_waitcnt vmcnt(5) lgkmcnt(2)
	v_mul_f32_e32 v61, v108, v122
	v_mul_f32_e32 v104, v107, v122
	s_waitcnt vmcnt(3) lgkmcnt(0)
	v_mul_f32_e32 v133, v114, v126
	v_mul_f32_e32 v122, v113, v126
	;; [unrolled: 1-line block ×4, first 2 shown]
	s_waitcnt vmcnt(2)
	v_mul_f32_e32 v134, v112, v128
	v_mul_f32_e32 v124, v111, v128
	s_waitcnt vmcnt(1)
	v_mul_f32_e32 v128, v106, v130
	v_mul_f32_e32 v126, v105, v130
	;; [unrolled: 3-line block ×3, first 2 shown]
	v_fma_f32 v103, v107, v121, -v61
	v_fmac_f32_e32 v104, v108, v121
	v_fma_f32 v121, v113, v125, -v133
	v_fmac_f32_e32 v122, v114, v125
	;; [unrolled: 2-line block ×6, first 2 shown]
	ds_write2_b64 v101, v[103:104], v[121:122] offset0:95 offset1:212
	ds_write2_b64 v91, v[65:66], v[125:126] offset0:117 offset1:234
	;; [unrolled: 1-line block ×4, first 2 shown]
	s_waitcnt lgkmcnt(0)
	s_barrier
	buffer_gl0_inv
	ds_read2_b64 v[103:106], v91 offset1:117
	ds_read2_b64 v[107:110], v60 offset0:106 offset1:223
	ds_read2_b64 v[111:114], v67 offset0:62 offset1:179
	;; [unrolled: 1-line block ×3, first 2 shown]
	ds_read_b64 v[65:66], v91 offset:7488
	s_waitcnt lgkmcnt(0)
	s_barrier
	buffer_gl0_inv
	v_add_f32_e32 v61, v103, v109
	v_add_f32_e32 v119, v109, v111
	;; [unrolled: 1-line block ×4, first 2 shown]
	v_sub_f32_e32 v126, v116, v114
	v_add_f32_e32 v127, v106, v116
	v_add_f32_e32 v116, v116, v114
	v_add_f32_e32 v129, v117, v65
	v_sub_f32_e32 v130, v118, v66
	v_add_f32_e32 v131, v108, v118
	v_add_f32_e32 v118, v118, v66
	v_sub_f32_e32 v120, v110, v112
	v_add_f32_e32 v121, v104, v110
	v_sub_f32_e32 v123, v109, v111
	v_add_f32_e32 v124, v105, v115
	v_fma_f32 v103, -0.5, v119, v103
	v_fma_f32 v104, -0.5, v122, v104
	v_sub_f32_e32 v128, v115, v113
	v_add_f32_e32 v115, v107, v117
	v_fma_f32 v105, -0.5, v125, v105
	v_fmac_f32_e32 v106, -0.5, v116
	v_sub_f32_e32 v132, v117, v65
	v_fma_f32 v107, -0.5, v129, v107
	v_fmac_f32_e32 v108, -0.5, v118
	v_add_f32_e32 v109, v61, v111
	v_add_f32_e32 v110, v121, v112
	;; [unrolled: 1-line block ×4, first 2 shown]
	v_fmamk_f32 v113, v120, 0xbf5db3d7, v103
	v_fmamk_f32 v114, v123, 0x3f5db3d7, v104
	v_fmac_f32_e32 v103, 0x3f5db3d7, v120
	v_fmac_f32_e32 v104, 0xbf5db3d7, v123
	v_add_f32_e32 v65, v115, v65
	v_fmamk_f32 v115, v126, 0xbf5db3d7, v105
	v_fmamk_f32 v116, v128, 0x3f5db3d7, v106
	v_fmac_f32_e32 v105, 0x3f5db3d7, v126
	v_fmac_f32_e32 v106, 0xbf5db3d7, v128
	v_add_f32_e32 v66, v131, v66
	v_fmamk_f32 v117, v130, 0xbf5db3d7, v107
	v_fmac_f32_e32 v107, 0x3f5db3d7, v130
	v_fmamk_f32 v118, v132, 0x3f5db3d7, v108
	v_fmac_f32_e32 v108, 0xbf5db3d7, v132
	ds_write2_b64 v62, v[109:110], v[113:114] offset1:1
	ds_write_b64 v62, v[103:104] offset:16
	ds_write2_b64 v64, v[111:112], v[115:116] offset1:1
	ds_write_b64 v64, v[105:106] offset:16
	;; [unrolled: 2-line block ×3, first 2 shown]
	s_waitcnt lgkmcnt(0)
	s_barrier
	buffer_gl0_inv
	ds_read2_b64 v[60:63], v60 offset0:106 offset1:223
	ds_read2_b64 v[103:106], v67 offset0:62 offset1:179
	;; [unrolled: 1-line block ×3, first 2 shown]
	ds_read_b64 v[111:112], v91 offset:7488
	ds_read2_b64 v[64:67], v91 offset1:117
	s_waitcnt lgkmcnt(0)
	s_barrier
	buffer_gl0_inv
	v_mul_f32_e32 v113, v9, v63
	v_mul_f32_e32 v9, v9, v62
	;; [unrolled: 1-line block ×12, first 2 shown]
	v_fmac_f32_e32 v113, v8, v62
	v_fma_f32 v8, v8, v63, -v9
	v_fmac_f32_e32 v114, v10, v103
	v_fma_f32 v9, v10, v104, -v11
	;; [unrolled: 2-line block ×6, first 2 shown]
	v_add_f32_e32 v1, v64, v113
	v_add_f32_e32 v3, v113, v114
	;; [unrolled: 1-line block ×5, first 2 shown]
	v_sub_f32_e32 v103, v4, v5
	v_add_f32_e32 v104, v67, v4
	v_add_f32_e32 v4, v4, v5
	;; [unrolled: 1-line block ×4, first 2 shown]
	v_sub_f32_e32 v6, v8, v9
	v_sub_f32_e32 v62, v113, v114
	v_add_f32_e32 v11, v66, v115
	v_sub_f32_e32 v105, v115, v116
	v_add_f32_e32 v106, v60, v117
	;; [unrolled: 2-line block ×4, first 2 shown]
	v_fma_f32 v8, -0.5, v3, v64
	v_add_f32_e32 v1, v7, v9
	v_fma_f32 v9, -0.5, v10, v65
	v_fma_f32 v66, -0.5, v63, v66
	v_fmac_f32_e32 v67, -0.5, v4
	v_fma_f32 v60, -0.5, v107, v60
	v_fmac_f32_e32 v61, -0.5, v110
	v_add_f32_e32 v10, v11, v116
	v_add_f32_e32 v11, v104, v5
	;; [unrolled: 1-line block ×4, first 2 shown]
	v_fmamk_f32 v2, v6, 0xbf5db3d7, v8
	v_fmac_f32_e32 v8, 0x3f5db3d7, v6
	v_fmamk_f32 v3, v62, 0x3f5db3d7, v9
	v_fmac_f32_e32 v9, 0xbf5db3d7, v62
	;; [unrolled: 2-line block ×6, first 2 shown]
	ds_write2_b64 v97, v[0:1], v[2:3] offset1:3
	ds_write_b64 v97, v[8:9] offset:48
	ds_write2_b64 v96, v[10:11], v[64:65] offset1:3
	ds_write_b64 v96, v[66:67] offset:48
	;; [unrolled: 2-line block ×3, first 2 shown]
	s_waitcnt lgkmcnt(0)
	s_barrier
	buffer_gl0_inv
	s_and_saveexec_b32 s0, vcc_lo
	s_cbranch_execz .LBB0_7
; %bb.6:
	ds_read2_b64 v[60:63], v102 offset0:136 offset1:217
	ds_read2_b64 v[0:3], v91 offset1:81
	ds_read2_b64 v[8:11], v91 offset0:162 offset1:243
	ds_read2_b64 v[64:67], v101 offset0:68 offset1:149
	;; [unrolled: 1-line block ×4, first 2 shown]
	ds_read_b64 v[89:90], v91 offset:7776
	s_waitcnt lgkmcnt(6)
	v_mov_b32_e32 v87, v62
	v_mov_b32_e32 v88, v63
.LBB0_7:
	s_or_b32 exec_lo, exec_lo, s0
	s_waitcnt lgkmcnt(0)
	s_barrier
	buffer_gl0_inv
	s_and_saveexec_b32 s0, vcc_lo
	s_cbranch_execz .LBB0_9
; %bb.8:
	v_mul_f32_e32 v62, v35, v89
	v_mul_f32_e32 v63, v25, v2
	;; [unrolled: 1-line block ×5, first 2 shown]
	v_fma_f32 v35, v34, v90, -v62
	v_fma_f32 v62, v24, v3, -v63
	v_mul_f32_e32 v3, v33, v58
	v_mul_f32_e32 v63, v27, v8
	v_fmac_f32_e32 v95, v24, v2
	v_fmac_f32_e32 v25, v34, v89
	v_add_f32_e32 v89, v35, v62
	v_mul_f32_e32 v90, v27, v9
	v_fma_f32 v27, v32, v59, -v3
	v_fma_f32 v63, v26, v9, -v63
	v_mul_f32_e32 v24, v33, v59
	v_mul_f32_e32 v2, v31, v56
	;; [unrolled: 1-line block ×3, first 2 shown]
	v_sub_f32_e32 v9, v95, v25
	v_mul_f32_e32 v34, 0xbf788fa5, v89
	v_add_f32_e32 v33, v27, v63
	v_fmac_f32_e32 v90, v26, v8
	v_fmac_f32_e32 v24, v32, v58
	v_fma_f32 v26, v30, v57, -v2
	v_fma_f32 v32, v20, v11, -v3
	v_mul_f32_e32 v58, v21, v11
	v_mul_f32_e32 v31, v31, v57
	v_fmamk_f32 v59, v9, 0x3e750f2a, v34
	v_mul_f32_e32 v57, 0x3f62ad3f, v33
	v_sub_f32_e32 v8, v90, v24
	v_add_f32_e32 v96, v26, v32
	v_fmac_f32_e32 v58, v20, v10
	v_fmac_f32_e32 v31, v30, v56
	v_add_f32_e32 v2, v1, v59
	v_fmamk_f32 v3, v8, 0xbeedf032, v57
	v_mul_f32_e32 v30, 0xbf3f9e67, v96
	v_mul_f32_e32 v11, v29, v87
	v_sub_f32_e32 v10, v58, v31
	v_mul_f32_e32 v20, v23, v64
	v_add_f32_e32 v2, v3, v2
	v_sub_f32_e32 v101, v63, v27
	v_fma_f32 v56, v28, v88, -v11
	v_fmamk_f32 v3, v10, 0x3f29c268, v30
	v_fma_f32 v59, v22, v65, -v20
	v_mul_f32_e32 v65, v23, v65
	v_mul_f32_e32 v88, v29, v88
	;; [unrolled: 1-line block ×3, first 2 shown]
	v_add_f32_e32 v2, v3, v2
	v_mul_f32_e32 v3, v15, v60
	v_add_f32_e32 v23, v56, v59
	v_fmac_f32_e32 v65, v22, v64
	v_fmac_f32_e32 v88, v28, v87
	v_fma_f32 v29, v16, v67, -v11
	v_fma_f32 v28, v14, v61, -v3
	v_mul_f32_e32 v64, v17, v67
	v_mul_f32_e32 v61, v15, v61
	;; [unrolled: 1-line block ×3, first 2 shown]
	v_sub_f32_e32 v11, v65, v88
	v_add_f32_e32 v87, v28, v29
	v_fmac_f32_e32 v64, v16, v66
	v_fmac_f32_e32 v61, v14, v60
	v_mul_f32_e32 v3, v13, v6
	v_mul_f32_e32 v15, v19, v4
	v_fmamk_f32 v16, v11, 0xbf52af12, v67
	v_mul_f32_e32 v60, 0xbeb58ec6, v87
	v_sub_f32_e32 v14, v64, v61
	v_sub_f32_e32 v22, v62, v35
	v_fma_f32 v66, v12, v7, -v3
	v_fma_f32 v97, v18, v5, -v15
	v_add_f32_e32 v2, v16, v2
	v_fmamk_f32 v3, v14, 0x3f6f5d39, v60
	v_add_f32_e32 v15, v25, v95
	v_mul_f32_e32 v100, 0xbe750f2a, v22
	v_add_f32_e32 v16, v24, v90
	v_mul_f32_e32 v103, 0x3eedf032, v101
	v_add_f32_e32 v2, v3, v2
	v_sub_f32_e32 v105, v32, v26
	v_fmamk_f32 v3, v15, 0xbf788fa5, v100
	v_mul_f32_e32 v106, v13, v7
	v_fmamk_f32 v5, v16, 0x3f62ad3f, v103
	v_add_f32_e32 v7, v31, v58
	v_mul_f32_e32 v107, 0xbf29c268, v105
	v_add_f32_e32 v3, v0, v3
	v_sub_f32_e32 v108, v59, v56
	v_add_f32_e32 v99, v66, v97
	v_fmac_f32_e32 v104, v18, v4
	v_fmac_f32_e32 v106, v12, v6
	v_add_f32_e32 v3, v5, v3
	v_fmamk_f32 v4, v7, 0xbf3f9e67, v107
	v_add_f32_e32 v12, v88, v65
	v_mul_f32_e32 v109, 0x3f52af12, v108
	v_sub_f32_e32 v110, v29, v28
	v_mul_f32_e32 v111, 0xbf3f9e67, v89
	v_mul_f32_e32 v102, 0x3df6dbef, v99
	v_sub_f32_e32 v6, v104, v106
	v_add_f32_e32 v3, v4, v3
	v_fmamk_f32 v4, v12, 0x3f116cb1, v109
	v_add_f32_e32 v13, v61, v64
	v_mul_f32_e32 v112, 0xbf6f5d39, v110
	v_fmamk_f32 v5, v9, 0x3f29c268, v111
	v_mul_f32_e32 v113, 0x3df6dbef, v33
	v_fmamk_f32 v17, v6, 0xbf7e222b, v102
	v_add_f32_e32 v4, v4, v3
	v_fmamk_f32 v18, v13, 0xbeb58ec6, v112
	v_add_f32_e32 v5, v1, v5
	v_fmamk_f32 v19, v8, 0xbf7e222b, v113
	v_mul_f32_e32 v114, 0x3f116cb1, v96
	v_sub_f32_e32 v115, v97, v66
	v_add_f32_e32 v3, v17, v2
	v_add_f32_e32 v2, v18, v4
	;; [unrolled: 1-line block ×3, first 2 shown]
	v_fmamk_f32 v5, v10, 0x3f52af12, v114
	v_mul_f32_e32 v116, 0xbf788fa5, v23
	v_add_f32_e32 v17, v106, v104
	v_mul_f32_e32 v117, 0x3f7e222b, v115
	v_mul_f32_e32 v118, 0xbf29c268, v22
	v_add_f32_e32 v4, v5, v4
	v_fmamk_f32 v5, v11, 0xbe750f2a, v116
	v_mul_f32_e32 v119, 0x3f62ad3f, v87
	v_fmamk_f32 v18, v17, 0x3df6dbef, v117
	v_fmamk_f32 v19, v15, 0xbf3f9e67, v118
	v_mul_f32_e32 v120, 0x3f7e222b, v101
	v_add_f32_e32 v4, v5, v4
	v_fmamk_f32 v5, v14, 0xbeedf032, v119
	v_add_f32_e32 v2, v18, v2
	v_add_f32_e32 v18, v0, v19
	v_fmamk_f32 v19, v16, 0x3df6dbef, v120
	v_mul_f32_e32 v121, 0xbf52af12, v105
	v_add_f32_e32 v4, v5, v4
	v_mul_f32_e32 v123, 0xbeb58ec6, v89
	v_mul_f32_e32 v124, 0x3e750f2a, v108
	v_add_f32_e32 v5, v19, v18
	v_fmamk_f32 v18, v7, 0x3f116cb1, v121
	v_mul_f32_e32 v122, 0xbeb58ec6, v99
	v_fmamk_f32 v20, v9, 0x3f6f5d39, v123
	v_mul_f32_e32 v125, 0xbf3f9e67, v33
	v_mul_f32_e32 v126, 0x3eedf032, v110
	v_add_f32_e32 v5, v18, v5
	v_fmamk_f32 v18, v12, 0xbf788fa5, v124
	v_fmamk_f32 v19, v6, 0x3f6f5d39, v122
	v_add_f32_e32 v20, v1, v20
	v_fmamk_f32 v21, v8, 0xbf29c268, v125
	v_mul_f32_e32 v127, 0x3f62ad3f, v96
	v_add_f32_e32 v18, v18, v5
	v_fmamk_f32 v128, v13, 0x3f62ad3f, v126
	v_add_f32_e32 v5, v19, v4
	v_add_f32_e32 v4, v21, v20
	v_fmamk_f32 v19, v10, 0xbeedf032, v127
	v_mul_f32_e32 v129, 0x3df6dbef, v23
	v_add_f32_e32 v18, v128, v18
	v_mul_f32_e32 v128, 0xbf6f5d39, v115
	v_mul_f32_e32 v130, 0xbf6f5d39, v22
	v_add_f32_e32 v4, v19, v4
	v_fmamk_f32 v19, v11, 0x3f7e222b, v129
	v_mul_f32_e32 v131, 0xbf788fa5, v87
	v_fmamk_f32 v20, v17, 0xbeb58ec6, v128
	v_fmamk_f32 v21, v15, 0xbeb58ec6, v130
	v_mul_f32_e32 v132, 0x3f29c268, v101
	v_add_f32_e32 v19, v19, v4
	v_fmamk_f32 v133, v14, 0xbe750f2a, v131
	v_add_f32_e32 v4, v20, v18
	v_add_f32_e32 v18, v0, v21
	v_fmamk_f32 v20, v16, 0xbf3f9e67, v132
	v_mul_f32_e32 v134, 0x3eedf032, v105
	v_mul_f32_e32 v135, 0x3df6dbef, v89
	v_add_f32_e32 v19, v133, v19
	v_mul_f32_e32 v133, 0x3f116cb1, v99
	v_add_f32_e32 v18, v20, v18
	v_fmamk_f32 v20, v7, 0x3f62ad3f, v134
	v_mul_f32_e32 v136, 0xbf7e222b, v108
	v_fmamk_f32 v137, v9, 0x3f7e222b, v135
	v_mul_f32_e32 v138, 0xbf788fa5, v33
	v_fmamk_f32 v21, v6, 0xbf52af12, v133
	v_add_f32_e32 v18, v20, v18
	v_fmamk_f32 v20, v12, 0x3df6dbef, v136
	v_mul_f32_e32 v139, 0x3e750f2a, v110
	v_add_f32_e32 v137, v1, v137
	v_fmamk_f32 v140, v8, 0x3e750f2a, v138
	v_mul_f32_e32 v141, 0xbeb58ec6, v96
	v_add_f32_e32 v18, v20, v18
	v_fmamk_f32 v20, v13, 0xbf788fa5, v139
	v_add_f32_e32 v19, v21, v19
	v_add_f32_e32 v21, v140, v137
	v_fmamk_f32 v137, v10, 0xbf6f5d39, v141
	v_mul_f32_e32 v140, 0x3f62ad3f, v23
	v_mul_f32_e32 v142, 0x3f52af12, v115
	;; [unrolled: 1-line block ×3, first 2 shown]
	v_add_f32_e32 v18, v20, v18
	v_add_f32_e32 v20, v137, v21
	v_fmamk_f32 v21, v11, 0xbeedf032, v140
	v_mul_f32_e32 v137, 0x3f116cb1, v87
	v_fmamk_f32 v144, v17, 0x3f116cb1, v142
	v_fmamk_f32 v145, v15, 0x3df6dbef, v143
	v_mul_f32_e32 v146, 0xbe750f2a, v101
	v_add_f32_e32 v20, v21, v20
	v_fmamk_f32 v21, v14, 0x3f52af12, v137
	v_add_f32_e32 v18, v144, v18
	v_add_f32_e32 v144, v0, v145
	v_fmamk_f32 v145, v16, 0xbf788fa5, v146
	v_mul_f32_e32 v147, 0x3f6f5d39, v105
	v_mul_f32_e32 v149, 0x3f116cb1, v89
	v_add_f32_e32 v20, v21, v20
	v_mul_f32_e32 v148, 0xbf3f9e67, v99
	v_add_f32_e32 v21, v145, v144
	v_fmamk_f32 v144, v7, 0xbeb58ec6, v147
	v_mul_f32_e32 v145, 0x3eedf032, v108
	v_fmamk_f32 v151, v9, 0x3f52af12, v149
	v_mul_f32_e32 v152, 0xbeb58ec6, v33
	v_fmamk_f32 v150, v6, 0x3f29c268, v148
	v_add_f32_e32 v21, v144, v21
	v_fmamk_f32 v144, v12, 0x3f62ad3f, v145
	v_mul_f32_e32 v153, 0xbf52af12, v110
	v_add_f32_e32 v151, v1, v151
	v_fmamk_f32 v154, v8, 0x3f6f5d39, v152
	v_mul_f32_e32 v155, 0xbf788fa5, v96
	v_add_f32_e32 v144, v144, v21
	v_fmamk_f32 v156, v13, 0x3f116cb1, v153
	v_add_f32_e32 v21, v150, v20
	v_add_f32_e32 v20, v154, v151
	v_fmamk_f32 v150, v10, 0x3e750f2a, v155
	v_mul_f32_e32 v151, 0xbf3f9e67, v23
	v_mul_f32_e32 v154, 0xbf52af12, v22
	v_add_f32_e32 v144, v156, v144
	v_mul_f32_e32 v156, 0xbf29c268, v115
	v_add_f32_e32 v20, v150, v20
	v_fmamk_f32 v150, v11, 0xbf29c268, v151
	v_mul_f32_e32 v157, 0x3df6dbef, v87
	v_fmamk_f32 v158, v15, 0x3f116cb1, v154
	v_mul_f32_e32 v159, 0xbf6f5d39, v101
	v_add_f32_e32 v62, v62, v1
	v_fmamk_f32 v160, v17, 0xbf3f9e67, v156
	v_add_f32_e32 v150, v150, v20
	v_fmamk_f32 v161, v14, 0xbf7e222b, v157
	;; [unrolled: 2-line block ×3, first 2 shown]
	v_mul_f32_e32 v163, 0xbe750f2a, v105
	v_mul_f32_e32 v89, 0x3f62ad3f, v89
	v_add_f32_e32 v62, v63, v62
	v_add_f32_e32 v63, v0, v95
	v_add_f32_e32 v20, v160, v144
	v_add_f32_e32 v144, v161, v150
	v_add_f32_e32 v150, v162, v158
	v_fmamk_f32 v158, v7, 0xbf788fa5, v163
	v_mul_f32_e32 v160, 0x3f29c268, v108
	v_fmamk_f32 v162, v9, 0x3eedf032, v89
	v_mul_f32_e32 v164, 0x3f116cb1, v33
	v_add_f32_e32 v32, v32, v62
	v_add_f32_e32 v62, v90, v63
	;; [unrolled: 1-line block ×3, first 2 shown]
	v_fmamk_f32 v150, v12, 0xbf3f9e67, v160
	v_mul_f32_e32 v158, 0x3f7e222b, v110
	v_add_f32_e32 v162, v1, v162
	v_fmamk_f32 v165, v8, 0x3f52af12, v164
	v_mul_f32_e32 v96, 0x3df6dbef, v96
	v_add_f32_e32 v32, v59, v32
	v_add_f32_e32 v58, v58, v62
	;; [unrolled: 1-line block ×3, first 2 shown]
	v_fmamk_f32 v150, v13, 0x3df6dbef, v158
	v_mul_f32_e32 v166, 0x3eedf032, v115
	v_add_f32_e32 v162, v165, v162
	v_fmamk_f32 v165, v10, 0x3f7e222b, v96
	v_mul_f32_e32 v167, 0xbeb58ec6, v23
	v_add_f32_e32 v29, v29, v32
	v_add_f32_e32 v32, v65, v58
	;; [unrolled: 1-line block ×3, first 2 shown]
	v_fmamk_f32 v150, v17, 0x3f62ad3f, v166
	v_add_f32_e32 v162, v165, v162
	v_fmamk_f32 v165, v11, 0x3f6f5d39, v167
	v_mul_f32_e32 v87, 0xbf3f9e67, v87
	v_add_f32_e32 v29, v97, v29
	v_add_f32_e32 v32, v64, v32
	v_mul_f32_e32 v168, 0xbeedf032, v22
	v_add_f32_e32 v22, v150, v33
	v_add_f32_e32 v33, v165, v162
	v_mul_f32_e32 v90, 0xbf7e222b, v105
	v_fmamk_f32 v105, v14, 0x3f29c268, v87
	v_mul_f32_e32 v64, 0xbf788fa5, v99
	v_add_f32_e32 v29, v66, v29
	v_add_f32_e32 v32, v104, v32
	v_fmac_f32_e32 v34, 0xbe750f2a, v9
	v_add_f32_e32 v33, v105, v33
	v_fmamk_f32 v66, v6, 0x3e750f2a, v64
	v_add_f32_e32 v28, v28, v29
	v_add_f32_e32 v32, v106, v32
	v_fmac_f32_e32 v57, 0x3eedf032, v8
	v_fmac_f32_e32 v30, 0xbf29c268, v10
	v_add_f32_e32 v29, v66, v33
	v_add_f32_e32 v33, v56, v28
	;; [unrolled: 1-line block ×3, first 2 shown]
	v_fma_f32 v56, 0xbf788fa5, v15, -v100
	v_fmac_f32_e32 v67, 0x3f52af12, v11
	v_fmac_f32_e32 v111, 0xbf29c268, v9
	v_add_f32_e32 v26, v26, v33
	v_add_f32_e32 v32, v88, v32
	;; [unrolled: 1-line block ×4, first 2 shown]
	v_fma_f32 v56, 0x3f62ad3f, v16, -v103
	v_add_f32_e32 v26, v27, v26
	v_add_f32_e32 v27, v31, v32
	;; [unrolled: 1-line block ×3, first 2 shown]
	v_fma_f32 v33, 0xbf3f9e67, v7, -v107
	v_add_f32_e32 v32, v56, v34
	v_fmac_f32_e32 v60, 0xbf6f5d39, v14
	v_add_f32_e32 v24, v24, v27
	v_add_f32_e32 v27, v30, v31
	v_fma_f32 v31, 0x3f116cb1, v12, -v109
	v_add_f32_e32 v30, v33, v32
	v_fmac_f32_e32 v113, 0x3f7e222b, v8
	v_add_f32_e32 v25, v25, v24
	v_add_f32_e32 v24, v67, v27
	v_fmac_f32_e32 v102, 0x3f7e222b, v6
	v_add_f32_e32 v27, v31, v30
	v_fma_f32 v30, 0xbeb58ec6, v13, -v112
	v_add_f32_e32 v31, v1, v111
	v_add_f32_e32 v24, v60, v24
	v_fmac_f32_e32 v114, 0xbf52af12, v10
	v_fmac_f32_e32 v123, 0xbf6f5d39, v9
	v_add_f32_e32 v27, v30, v27
	v_fma_f32 v30, 0x3df6dbef, v17, -v117
	v_add_f32_e32 v32, v113, v31
	v_add_f32_e32 v31, v102, v24
	v_fma_f32 v24, 0xbf3f9e67, v15, -v118
	v_fmac_f32_e32 v116, 0x3e750f2a, v11
	v_add_f32_e32 v30, v30, v27
	v_add_f32_e32 v27, v114, v32
	v_fma_f32 v32, 0x3df6dbef, v16, -v120
	v_add_f32_e32 v24, v0, v24
	v_mul_f32_e32 v161, 0x3f62ad3f, v99
	v_add_f32_e32 v33, v1, v123
	v_fmac_f32_e32 v125, 0x3f29c268, v8
	v_add_f32_e32 v27, v116, v27
	v_fmac_f32_e32 v119, 0x3eedf032, v14
	v_add_f32_e32 v24, v32, v24
	v_fma_f32 v32, 0x3f116cb1, v7, -v121
	v_fmamk_f32 v23, v6, 0xbeedf032, v161
	v_add_f32_e32 v33, v125, v33
	v_fmac_f32_e32 v127, 0x3eedf032, v10
	v_add_f32_e32 v27, v119, v27
	v_fmac_f32_e32 v122, 0xbf6f5d39, v6
	v_add_f32_e32 v24, v32, v24
	v_fma_f32 v32, 0xbf788fa5, v12, -v124
	v_add_f32_e32 v23, v23, v144
	v_fmamk_f32 v144, v15, 0x3f62ad3f, v168
	v_mul_f32_e32 v95, 0xbf52af12, v101
	v_add_f32_e32 v34, v127, v33
	v_fmac_f32_e32 v129, 0xbf7e222b, v11
	v_add_f32_e32 v33, v122, v27
	v_fma_f32 v27, 0xbeb58ec6, v15, -v130
	v_add_f32_e32 v24, v32, v24
	v_fma_f32 v32, 0x3f62ad3f, v13, -v126
	v_add_f32_e32 v101, v0, v144
	v_fmamk_f32 v63, v16, 0x3f116cb1, v95
	v_add_f32_e32 v26, v35, v26
	v_add_f32_e32 v34, v129, v34
	v_fmac_f32_e32 v131, 0x3e750f2a, v14
	v_add_f32_e32 v27, v0, v27
	v_fma_f32 v35, 0xbf3f9e67, v16, -v132
	v_add_f32_e32 v24, v32, v24
	v_fma_f32 v32, 0xbeb58ec6, v17, -v128
	v_add_f32_e32 v59, v63, v101
	v_fmamk_f32 v62, v7, 0x3df6dbef, v90
	v_mul_f32_e32 v63, 0xbf6f5d39, v108
	v_add_f32_e32 v34, v131, v34
	v_fmac_f32_e32 v133, 0x3f52af12, v6
	v_add_f32_e32 v27, v35, v27
	v_fma_f32 v56, 0x3f62ad3f, v7, -v134
	v_add_f32_e32 v32, v32, v24
	v_fmac_f32_e32 v135, 0xbf7e222b, v9
	v_fma_f32 v24, 0x3df6dbef, v15, -v143
	v_add_f32_e32 v58, v62, v59
	v_fmamk_f32 v59, v12, 0xbeb58ec6, v63
	v_mul_f32_e32 v62, 0xbf29c268, v110
	v_add_f32_e32 v35, v133, v34
	v_add_f32_e32 v27, v56, v27
	v_fma_f32 v34, 0x3df6dbef, v12, -v136
	v_add_f32_e32 v56, v1, v135
	v_fmac_f32_e32 v138, 0xbe750f2a, v8
	v_add_f32_e32 v24, v0, v24
	v_fma_f32 v57, 0xbf788fa5, v16, -v146
	v_add_f32_e32 v58, v59, v58
	v_fmamk_f32 v59, v13, 0xbf3f9e67, v62
	v_mul_f32_e32 v65, 0xbe750f2a, v115
	v_add_f32_e32 v27, v34, v27
	v_fma_f32 v34, 0xbf788fa5, v13, -v139
	v_add_f32_e32 v56, v138, v56
	v_fmac_f32_e32 v141, 0x3f6f5d39, v10
	v_add_f32_e32 v24, v57, v24
	v_fma_f32 v57, 0xbeb58ec6, v7, -v147
	v_add_f32_e32 v58, v59, v58
	v_fmamk_f32 v59, v17, 0xbf788fa5, v65
	v_add_f32_e32 v27, v34, v27
	v_fma_f32 v34, 0x3f116cb1, v17, -v142
	v_add_f32_e32 v56, v141, v56
	v_fmac_f32_e32 v140, 0x3eedf032, v11
	v_add_f32_e32 v24, v57, v24
	v_fma_f32 v57, 0x3f62ad3f, v12, -v145
	v_fmac_f32_e32 v149, 0xbf52af12, v9
	v_add_f32_e32 v28, v59, v58
	v_add_f32_e32 v34, v34, v27
	;; [unrolled: 1-line block ×3, first 2 shown]
	v_fmac_f32_e32 v137, 0xbf52af12, v14
	v_add_f32_e32 v24, v57, v24
	v_fma_f32 v56, 0x3f116cb1, v13, -v153
	v_add_f32_e32 v57, v1, v149
	v_fmac_f32_e32 v152, 0xbf6f5d39, v8
	v_fma_f32 v58, 0x3f116cb1, v15, -v154
	v_add_f32_e32 v27, v137, v27
	v_fmac_f32_e32 v148, 0xbf29c268, v6
	v_add_f32_e32 v24, v56, v24
	v_add_f32_e32 v56, v152, v57
	v_fmac_f32_e32 v155, 0xbe750f2a, v10
	v_fma_f32 v59, 0xbf3f9e67, v17, -v156
	v_add_f32_e32 v58, v0, v58
	v_fma_f32 v60, 0xbeb58ec6, v16, -v159
	v_add_f32_e32 v57, v148, v27
	v_add_f32_e32 v27, v155, v56
	;; [unrolled: 1-line block ×3, first 2 shown]
	v_fmac_f32_e32 v89, 0xbeedf032, v9
	v_add_f32_e32 v24, v60, v58
	v_fma_f32 v58, 0xbf788fa5, v7, -v163
	v_fma_f32 v15, 0x3f62ad3f, v15, -v168
	v_fmac_f32_e32 v164, 0xbf52af12, v8
	v_add_f32_e32 v1, v1, v89
	v_fma_f32 v8, 0xbf3f9e67, v12, -v160
	v_add_f32_e32 v24, v58, v24
	v_add_f32_e32 v0, v0, v15
	v_fma_f32 v15, 0x3f116cb1, v16, -v95
	v_add_f32_e32 v1, v164, v1
	v_fmac_f32_e32 v96, 0xbf7e222b, v10
	v_add_f32_e32 v8, v8, v24
	v_fma_f32 v7, 0x3df6dbef, v7, -v90
	v_add_f32_e32 v0, v15, v0
	v_fma_f32 v10, 0x3df6dbef, v13, -v158
	v_fmac_f32_e32 v151, 0x3f29c268, v11
	v_add_f32_e32 v1, v96, v1
	v_fmac_f32_e32 v167, 0xbf6f5d39, v11
	v_add_f32_e32 v0, v7, v0
	v_fma_f32 v7, 0xbeb58ec6, v12, -v63
	v_add_f32_e32 v8, v10, v8
	v_mov_b32_e32 v10, 0x75
	v_add_f32_e32 v9, v151, v27
	v_fmac_f32_e32 v157, 0x3f7e222b, v14
	v_add_f32_e32 v1, v167, v1
	v_fmac_f32_e32 v87, 0xbf29c268, v14
	v_add_f32_e32 v0, v7, v0
	v_fma_f32 v7, 0xbf3f9e67, v13, -v62
	v_mul_u32_u24_sdwa v10, v94, v10 dst_sel:DWORD dst_unused:UNUSED_PAD src0_sel:WORD_0 src1_sel:DWORD
	v_add_f32_e32 v9, v157, v9
	v_fmac_f32_e32 v161, 0x3eedf032, v6
	v_fma_f32 v11, 0x3f62ad3f, v17, -v166
	v_add_f32_e32 v12, v87, v1
	v_fmac_f32_e32 v64, 0xbe750f2a, v6
	v_add_f32_e32 v6, v7, v0
	v_fma_f32 v13, 0xbf788fa5, v17, -v65
	v_add_lshl_u32 v10, v10, v93, 3
	v_add_f32_e32 v1, v161, v9
	v_add_f32_e32 v0, v11, v8
	;; [unrolled: 1-line block ×4, first 2 shown]
	ds_write2_b64 v10, v[25:26], v[28:29] offset1:9
	ds_write2_b64 v10, v[22:23], v[20:21] offset0:18 offset1:27
	ds_write2_b64 v10, v[18:19], v[4:5] offset0:36 offset1:45
	;; [unrolled: 1-line block ×5, first 2 shown]
	ds_write_b64 v10, v[6:7] offset:864
.LBB0_9:
	s_or_b32 exec_lo, exec_lo, s0
	v_add_nc_u32_e32 v18, 0x400, v91
	v_add_nc_u32_e32 v19, 0x1400, v91
	;; [unrolled: 1-line block ×3, first 2 shown]
	s_waitcnt lgkmcnt(0)
	s_barrier
	buffer_gl0_inv
	ds_read_b64 v[16:17], v91 offset:7488
	ds_read2_b64 v[0:3], v18 offset0:106 offset1:223
	ds_read2_b64 v[4:7], v19 offset0:62 offset1:179
	;; [unrolled: 1-line block ×3, first 2 shown]
	ds_read2_b64 v[12:15], v91 offset1:117
	s_waitcnt lgkmcnt(0)
	s_barrier
	buffer_gl0_inv
	s_mov_b32 s0, 0xad57473c
	s_mov_b32 s1, 0x3f4f1e63
	s_mul_i32 s4, s9, 0xffffedb8
	s_sub_i32 s4, s4, s8
	v_mul_f32_e32 v22, v37, v3
	v_mul_f32_e32 v24, v37, v2
	;; [unrolled: 1-line block ×5, first 2 shown]
	v_fmac_f32_e32 v22, v36, v2
	v_fma_f32 v3, v36, v3, -v24
	v_fmac_f32_e32 v25, v38, v4
	v_fma_f32 v5, v38, v5, -v26
	v_mul_f32_e32 v20, v43, v17
	v_mul_f32_e32 v27, v37, v9
	;; [unrolled: 1-line block ×5, first 2 shown]
	v_fmac_f32_e32 v29, v38, v6
	v_add_f32_e32 v2, v22, v25
	v_add_f32_e32 v6, v3, v5
	v_mul_f32_e32 v21, v43, v16
	v_mul_f32_e32 v32, v41, v10
	v_fmac_f32_e32 v20, v42, v16
	v_fmac_f32_e32 v27, v36, v8
	v_fma_f32 v9, v36, v9, -v28
	v_fma_f32 v16, v38, v7, -v30
	v_fmac_f32_e32 v31, v40, v10
	v_sub_f32_e32 v7, v3, v5
	v_fma_f32 v2, -0.5, v2, v12
	v_add_f32_e32 v8, v13, v3
	v_sub_f32_e32 v10, v22, v25
	v_fma_f32 v3, -0.5, v6, v13
	v_fma_f32 v17, v42, v17, -v21
	v_fmamk_f32 v6, v7, 0xbf5db3d7, v2
	v_fmac_f32_e32 v2, 0x3f5db3d7, v7
	v_add_f32_e32 v5, v8, v5
	v_add_f32_e32 v8, v27, v29
	v_fmamk_f32 v7, v10, 0x3f5db3d7, v3
	v_fmac_f32_e32 v3, 0xbf5db3d7, v10
	v_add_f32_e32 v10, v9, v16
	v_fma_f32 v21, v40, v11, -v32
	v_add_f32_e32 v4, v12, v22
	v_add_f32_e32 v11, v14, v27
	v_fma_f32 v14, -0.5, v8, v14
	v_sub_f32_e32 v12, v9, v16
	v_add_f32_e32 v9, v15, v9
	v_fmac_f32_e32 v15, -0.5, v10
	v_sub_f32_e32 v13, v27, v29
	v_add_f32_e32 v8, v11, v29
	v_fmamk_f32 v10, v12, 0xbf5db3d7, v14
	v_fmac_f32_e32 v14, 0x3f5db3d7, v12
	v_add_f32_e32 v12, v31, v20
	v_fmamk_f32 v11, v13, 0x3f5db3d7, v15
	v_fmac_f32_e32 v15, 0xbf5db3d7, v13
	v_add_f32_e32 v13, v21, v17
	v_add_f32_e32 v9, v9, v16
	;; [unrolled: 1-line block ×3, first 2 shown]
	v_fma_f32 v0, -0.5, v12, v0
	v_sub_f32_e32 v22, v21, v17
	v_add_f32_e32 v21, v1, v21
	v_fmac_f32_e32 v1, -0.5, v13
	v_sub_f32_e32 v24, v31, v20
	v_add_f32_e32 v4, v4, v25
	v_add_f32_e32 v12, v16, v20
	v_fmamk_f32 v16, v22, 0xbf5db3d7, v0
	v_add_f32_e32 v13, v21, v17
	v_fmamk_f32 v17, v24, 0x3f5db3d7, v1
	v_add_nc_u32_e32 v20, 0x1400, v98
	v_fmac_f32_e32 v0, 0x3f5db3d7, v22
	v_fmac_f32_e32 v1, 0xbf5db3d7, v24
	ds_write2_b64 v91, v[4:5], v[6:7] offset1:117
	ds_write2_b64 v18, v[2:3], v[8:9] offset0:106 offset1:223
	ds_write2_b64 v23, v[10:11], v[14:15] offset0:84 offset1:201
	;; [unrolled: 1-line block ×3, first 2 shown]
	ds_write_b64 v98, v[0:1] offset:7488
	s_waitcnt lgkmcnt(0)
	s_barrier
	buffer_gl0_inv
	ds_read2_b64 v[0:3], v18 offset0:106 offset1:223
	ds_read2_b64 v[4:7], v19 offset0:62 offset1:179
	;; [unrolled: 1-line block ×3, first 2 shown]
	ds_read_b64 v[16:17], v91 offset:7488
	ds_read2_b64 v[12:15], v91 offset1:117
	s_waitcnt lgkmcnt(4)
	v_mul_f32_e32 v20, v53, v3
	s_waitcnt lgkmcnt(3)
	v_mul_f32_e32 v22, v55, v5
	v_mul_f32_e32 v21, v53, v2
	;; [unrolled: 1-line block ×3, first 2 shown]
	s_waitcnt lgkmcnt(2)
	v_mul_f32_e32 v25, v45, v11
	v_fmac_f32_e32 v20, v52, v2
	v_mul_f32_e32 v2, v55, v4
	v_fmac_f32_e32 v22, v54, v4
	v_mul_f32_e32 v4, v49, v8
	v_fma_f32 v3, v52, v3, -v21
	v_mul_f32_e32 v21, v49, v9
	v_fma_f32 v5, v54, v5, -v2
	;; [unrolled: 2-line block ×3, first 2 shown]
	v_mul_f32_e32 v4, v45, v10
	v_fmac_f32_e32 v21, v48, v8
	v_fmac_f32_e32 v24, v50, v6
	v_fma_f32 v26, v50, v7, -v2
	s_waitcnt lgkmcnt(1)
	v_mul_f32_e32 v2, v47, v16
	v_fma_f32 v28, v44, v11, -v4
	v_add_f32_e32 v4, v20, v22
	v_add_f32_e32 v7, v3, v5
	v_mul_f32_e32 v27, v47, v17
	v_fmac_f32_e32 v25, v44, v10
	s_waitcnt lgkmcnt(0)
	v_add_f32_e32 v6, v12, v20
	v_fma_f32 v17, v46, v17, -v2
	v_fma_f32 v2, -0.5, v4, v12
	v_sub_f32_e32 v8, v3, v5
	v_add_f32_e32 v10, v13, v3
	v_fma_f32 v3, -0.5, v7, v13
	v_sub_f32_e32 v11, v20, v22
	v_add_f32_e32 v4, v6, v22
	v_fmamk_f32 v6, v8, 0xbf5db3d7, v2
	v_fmac_f32_e32 v2, 0x3f5db3d7, v8
	v_add_f32_e32 v8, v21, v24
	v_fmamk_f32 v7, v11, 0x3f5db3d7, v3
	v_fmac_f32_e32 v3, 0xbf5db3d7, v11
	v_add_f32_e32 v11, v9, v26
	v_fmac_f32_e32 v27, v46, v16
	v_add_f32_e32 v5, v10, v5
	v_add_f32_e32 v10, v14, v21
	v_fma_f32 v14, -0.5, v8, v14
	v_sub_f32_e32 v12, v9, v26
	v_add_f32_e32 v9, v15, v9
	v_fmac_f32_e32 v15, -0.5, v11
	v_sub_f32_e32 v13, v21, v24
	v_add_f32_e32 v8, v10, v24
	v_fmamk_f32 v10, v12, 0xbf5db3d7, v14
	v_fmac_f32_e32 v14, 0x3f5db3d7, v12
	v_add_f32_e32 v12, v25, v27
	v_fmamk_f32 v11, v13, 0x3f5db3d7, v15
	v_fmac_f32_e32 v15, 0xbf5db3d7, v13
	v_add_f32_e32 v13, v28, v17
	v_add_f32_e32 v16, v0, v25
	v_add_f32_e32 v21, v1, v28
	v_fma_f32 v0, -0.5, v12, v0
	v_sub_f32_e32 v20, v28, v17
	v_fmac_f32_e32 v1, -0.5, v13
	v_sub_f32_e32 v22, v25, v27
	v_add_f32_e32 v9, v9, v26
	v_add_f32_e32 v12, v16, v27
	;; [unrolled: 1-line block ×3, first 2 shown]
	v_fmamk_f32 v16, v20, 0xbf5db3d7, v0
	v_fmamk_f32 v17, v22, 0x3f5db3d7, v1
	v_fmac_f32_e32 v0, 0x3f5db3d7, v20
	v_fmac_f32_e32 v1, 0xbf5db3d7, v22
	ds_write_b64 v91, v[6:7] offset:2808
	v_add_nc_u32_e32 v6, 0x1800, v91
	ds_write_b64 v91, v[2:3] offset:5616
	ds_write2_b64 v91, v[4:5], v[8:9] offset1:117
	ds_write_b64 v91, v[12:13] offset:1872
	ds_write2_b64 v23, v[10:11], v[16:17] offset0:84 offset1:201
	ds_write2_b64 v6, v[14:15], v[0:1] offset0:51 offset1:168
	s_waitcnt lgkmcnt(0)
	s_barrier
	buffer_gl0_inv
	ds_read2_b64 v[0:3], v91 offset1:117
	ds_read2_b64 v[4:7], v18 offset0:106 offset1:223
	s_waitcnt lgkmcnt(1)
	v_mul_f32_e32 v8, v82, v1
	v_mul_f32_e32 v26, v80, v3
	s_waitcnt lgkmcnt(0)
	v_mul_f32_e32 v29, v70, v5
	v_fmac_f32_e32 v8, v81, v0
	v_mul_f32_e32 v0, v82, v0
	v_fmac_f32_e32 v26, v79, v2
	v_fmac_f32_e32 v29, v69, v4
	v_mul_f32_e32 v4, v70, v4
	v_cvt_f64_f32_e32 v[10:11], v8
	v_fma_f32 v9, v81, v1, -v0
	v_mad_u64_u32 v[0:1], null, s10, v68, 0
	v_mul_f32_e32 v8, v86, v7
	v_cvt_f64_f32_e32 v[26:27], v26
	v_cvt_f64_f32_e32 v[12:13], v9
	v_fma_f32 v4, v69, v5, -v4
	v_fmac_f32_e32 v8, v85, v6
	v_mad_u64_u32 v[20:21], null, s11, v68, v[1:2]
	v_mul_f32_e32 v6, v86, v6
	v_mul_f32_e32 v2, v80, v2
	v_cvt_f64_f32_e32 v[14:15], v8
	v_cvt_f64_f32_e32 v[4:5], v4
	v_fma_f32 v16, v85, v7, -v6
	v_mov_b32_e32 v1, v20
	ds_read2_b64 v[6:9], v19 offset0:62 offset1:179
	v_mad_u64_u32 v[18:19], null, s8, v92, 0
	v_mul_f64 v[10:11], v[10:11], s[0:1]
	v_cvt_f64_f32_e32 v[16:17], v16
	v_lshlrev_b64 v[0:1], 3, v[0:1]
	v_mul_f64 v[20:21], v[12:13], s[0:1]
	v_add_co_u32 v0, vcc_lo, s2, v0
	v_add_co_ci_u32_e32 v1, vcc_lo, s3, v1, vcc_lo
	s_mul_i32 s2, s9, 0xaf8
	s_mul_hi_u32 s3, s8, 0xaf8
	v_mul_f64 v[14:15], v[14:15], s[0:1]
	s_add_i32 s3, s3, s2
	s_mul_i32 s2, s8, 0xaf8
	v_mul_f64 v[4:5], v[4:5], s[0:1]
	v_cvt_f32_f64_e32 v22, v[10:11]
	v_mul_f64 v[16:17], v[16:17], s[0:1]
	v_mad_u64_u32 v[12:13], null, s9, v92, v[19:20]
	s_waitcnt lgkmcnt(0)
	v_mul_f32_e32 v13, v84, v7
	v_mul_f32_e32 v19, v84, v6
	v_fmac_f32_e32 v13, v83, v6
	v_fma_f32 v10, v83, v7, -v19
	v_mov_b32_e32 v19, v12
	v_cvt_f32_f64_e32 v14, v[14:15]
	v_cvt_f64_f32_e32 v[6:7], v13
	v_cvt_f64_f32_e32 v[24:25], v10
	ds_read2_b64 v[10:13], v23 offset0:84 offset1:201
	v_lshlrev_b64 v[18:19], 3, v[18:19]
	v_cvt_f32_f64_e32 v23, v[20:21]
	v_cvt_f32_f64_e32 v15, v[16:17]
	v_fma_f32 v20, v79, v3, -v2
	v_mul_f64 v[16:17], v[26:27], s[0:1]
	v_mul_f32_e32 v26, v72, v9
	v_add_co_u32 v0, vcc_lo, v0, v18
	v_add_co_ci_u32_e32 v1, vcc_lo, v1, v19, vcc_lo
	ds_read_b64 v[18:19], v91 offset:7488
	v_mul_f32_e32 v27, v72, v8
	v_cvt_f64_f32_e32 v[20:21], v20
	v_fmac_f32_e32 v26, v71, v8
	v_fma_f32 v27, v71, v9, -v27
	s_waitcnt lgkmcnt(1)
	v_mul_f32_e32 v28, v74, v11
	v_mul_f32_e32 v30, v76, v13
	;; [unrolled: 1-line block ×3, first 2 shown]
	v_mul_f64 v[2:3], v[24:25], s[0:1]
	v_mul_f64 v[6:7], v[6:7], s[0:1]
	v_fmac_f32_e32 v28, v73, v10
	v_mul_f32_e32 v10, v74, v10
	v_fmac_f32_e32 v30, v75, v12
	v_fma_f32 v31, v75, v13, -v31
	v_add_co_u32 v12, vcc_lo, v0, s2
	v_fma_f32 v10, v73, v11, -v10
	s_waitcnt lgkmcnt(0)
	v_mul_f32_e32 v32, v78, v19
	v_mul_f32_e32 v33, v78, v18
	v_cvt_f64_f32_e32 v[24:25], v28
	v_cvt_f64_f32_e32 v[28:29], v29
	;; [unrolled: 1-line block ×3, first 2 shown]
	v_fmac_f32_e32 v32, v77, v18
	v_fma_f32 v34, v77, v19, -v33
	v_cvt_f64_f32_e32 v[10:11], v26
	v_cvt_f64_f32_e32 v[26:27], v27
	;; [unrolled: 1-line block ×6, first 2 shown]
	v_mul_f64 v[20:21], v[20:21], s[0:1]
	v_add_co_ci_u32_e32 v13, vcc_lo, s3, v1, vcc_lo
	v_add_co_u32 v36, vcc_lo, v12, s2
	v_cvt_f32_f64_e32 v6, v[6:7]
	v_add_co_ci_u32_e32 v37, vcc_lo, s3, v13, vcc_lo
	v_cvt_f32_f64_e32 v7, v[2:3]
	v_cvt_f32_f64_e32 v16, v[16:17]
	global_store_dwordx2 v[0:1], v[22:23], off
	global_store_dwordx2 v[12:13], v[14:15], off
	v_mul_f64 v[24:25], v[24:25], s[0:1]
	v_mad_u64_u32 v[2:3], null, 0xffffedb8, s8, v[36:37]
	v_mul_f64 v[8:9], v[8:9], s[0:1]
	v_mul_f64 v[28:29], v[28:29], s[0:1]
	;; [unrolled: 1-line block ×8, first 2 shown]
	v_add_nc_u32_e32 v3, s4, v3
	v_cvt_f32_f64_e32 v17, v[20:21]
	global_store_dwordx2 v[36:37], v[6:7], off
	v_cvt_f32_f64_e32 v20, v[24:25]
	v_cvt_f32_f64_e32 v21, v[8:9]
	v_add_co_u32 v8, vcc_lo, v2, s2
	v_add_co_ci_u32_e32 v9, vcc_lo, s3, v3, vcc_lo
	v_cvt_f32_f64_e32 v10, v[10:11]
	v_add_co_u32 v24, vcc_lo, v8, s2
	v_add_co_ci_u32_e32 v25, vcc_lo, s3, v9, vcc_lo
	v_cvt_f32_f64_e32 v11, v[26:27]
	v_cvt_f32_f64_e32 v26, v[28:29]
	;; [unrolled: 1-line block ×3, first 2 shown]
	v_mad_u64_u32 v[4:5], null, 0xffffedb8, s8, v[24:25]
	v_cvt_f32_f64_e32 v18, v[18:19]
	v_cvt_f32_f64_e32 v19, v[30:31]
	;; [unrolled: 1-line block ×4, first 2 shown]
	global_store_dwordx2 v[2:3], v[16:17], off
	v_add_nc_u32_e32 v5, s4, v5
	v_add_co_u32 v0, vcc_lo, v4, s2
	v_add_co_ci_u32_e32 v1, vcc_lo, s3, v5, vcc_lo
	v_add_co_u32 v2, vcc_lo, v0, s2
	v_add_co_ci_u32_e32 v3, vcc_lo, s3, v1, vcc_lo
	global_store_dwordx2 v[8:9], v[20:21], off
	global_store_dwordx2 v[24:25], v[10:11], off
	;; [unrolled: 1-line block ×5, first 2 shown]
.LBB0_10:
	s_endpgm
	.section	.rodata,"a",@progbits
	.p2align	6, 0x0
	.amdhsa_kernel bluestein_single_back_len1053_dim1_sp_op_CI_CI
		.amdhsa_group_segment_fixed_size 8424
		.amdhsa_private_segment_fixed_size 0
		.amdhsa_kernarg_size 104
		.amdhsa_user_sgpr_count 6
		.amdhsa_user_sgpr_private_segment_buffer 1
		.amdhsa_user_sgpr_dispatch_ptr 0
		.amdhsa_user_sgpr_queue_ptr 0
		.amdhsa_user_sgpr_kernarg_segment_ptr 1
		.amdhsa_user_sgpr_dispatch_id 0
		.amdhsa_user_sgpr_flat_scratch_init 0
		.amdhsa_user_sgpr_private_segment_size 0
		.amdhsa_wavefront_size32 1
		.amdhsa_uses_dynamic_stack 0
		.amdhsa_system_sgpr_private_segment_wavefront_offset 0
		.amdhsa_system_sgpr_workgroup_id_x 1
		.amdhsa_system_sgpr_workgroup_id_y 0
		.amdhsa_system_sgpr_workgroup_id_z 0
		.amdhsa_system_sgpr_workgroup_info 0
		.amdhsa_system_vgpr_workitem_id 0
		.amdhsa_next_free_vgpr 240
		.amdhsa_next_free_sgpr 20
		.amdhsa_reserve_vcc 1
		.amdhsa_reserve_flat_scratch 0
		.amdhsa_float_round_mode_32 0
		.amdhsa_float_round_mode_16_64 0
		.amdhsa_float_denorm_mode_32 3
		.amdhsa_float_denorm_mode_16_64 3
		.amdhsa_dx10_clamp 1
		.amdhsa_ieee_mode 1
		.amdhsa_fp16_overflow 0
		.amdhsa_workgroup_processor_mode 1
		.amdhsa_memory_ordered 1
		.amdhsa_forward_progress 0
		.amdhsa_shared_vgpr_count 0
		.amdhsa_exception_fp_ieee_invalid_op 0
		.amdhsa_exception_fp_denorm_src 0
		.amdhsa_exception_fp_ieee_div_zero 0
		.amdhsa_exception_fp_ieee_overflow 0
		.amdhsa_exception_fp_ieee_underflow 0
		.amdhsa_exception_fp_ieee_inexact 0
		.amdhsa_exception_int_div_zero 0
	.end_amdhsa_kernel
	.text
.Lfunc_end0:
	.size	bluestein_single_back_len1053_dim1_sp_op_CI_CI, .Lfunc_end0-bluestein_single_back_len1053_dim1_sp_op_CI_CI
                                        ; -- End function
	.section	.AMDGPU.csdata,"",@progbits
; Kernel info:
; codeLenInByte = 12952
; NumSgprs: 22
; NumVgprs: 240
; ScratchSize: 0
; MemoryBound: 0
; FloatMode: 240
; IeeeMode: 1
; LDSByteSize: 8424 bytes/workgroup (compile time only)
; SGPRBlocks: 2
; VGPRBlocks: 29
; NumSGPRsForWavesPerEU: 22
; NumVGPRsForWavesPerEU: 240
; Occupancy: 4
; WaveLimiterHint : 1
; COMPUTE_PGM_RSRC2:SCRATCH_EN: 0
; COMPUTE_PGM_RSRC2:USER_SGPR: 6
; COMPUTE_PGM_RSRC2:TRAP_HANDLER: 0
; COMPUTE_PGM_RSRC2:TGID_X_EN: 1
; COMPUTE_PGM_RSRC2:TGID_Y_EN: 0
; COMPUTE_PGM_RSRC2:TGID_Z_EN: 0
; COMPUTE_PGM_RSRC2:TIDIG_COMP_CNT: 0
	.text
	.p2alignl 6, 3214868480
	.fill 48, 4, 3214868480
	.type	__hip_cuid_ce67030076eb7758,@object ; @__hip_cuid_ce67030076eb7758
	.section	.bss,"aw",@nobits
	.globl	__hip_cuid_ce67030076eb7758
__hip_cuid_ce67030076eb7758:
	.byte	0                               ; 0x0
	.size	__hip_cuid_ce67030076eb7758, 1

	.ident	"AMD clang version 19.0.0git (https://github.com/RadeonOpenCompute/llvm-project roc-6.4.0 25133 c7fe45cf4b819c5991fe208aaa96edf142730f1d)"
	.section	".note.GNU-stack","",@progbits
	.addrsig
	.addrsig_sym __hip_cuid_ce67030076eb7758
	.amdgpu_metadata
---
amdhsa.kernels:
  - .args:
      - .actual_access:  read_only
        .address_space:  global
        .offset:         0
        .size:           8
        .value_kind:     global_buffer
      - .actual_access:  read_only
        .address_space:  global
        .offset:         8
        .size:           8
        .value_kind:     global_buffer
      - .actual_access:  read_only
        .address_space:  global
        .offset:         16
        .size:           8
        .value_kind:     global_buffer
      - .actual_access:  read_only
        .address_space:  global
        .offset:         24
        .size:           8
        .value_kind:     global_buffer
      - .actual_access:  read_only
        .address_space:  global
        .offset:         32
        .size:           8
        .value_kind:     global_buffer
      - .offset:         40
        .size:           8
        .value_kind:     by_value
      - .address_space:  global
        .offset:         48
        .size:           8
        .value_kind:     global_buffer
      - .address_space:  global
        .offset:         56
        .size:           8
        .value_kind:     global_buffer
      - .address_space:  global
        .offset:         64
        .size:           8
        .value_kind:     global_buffer
      - .address_space:  global
        .offset:         72
        .size:           8
        .value_kind:     global_buffer
      - .offset:         80
        .size:           4
        .value_kind:     by_value
      - .address_space:  global
        .offset:         88
        .size:           8
        .value_kind:     global_buffer
      - .address_space:  global
        .offset:         96
        .size:           8
        .value_kind:     global_buffer
    .group_segment_fixed_size: 8424
    .kernarg_segment_align: 8
    .kernarg_segment_size: 104
    .language:       OpenCL C
    .language_version:
      - 2
      - 0
    .max_flat_workgroup_size: 117
    .name:           bluestein_single_back_len1053_dim1_sp_op_CI_CI
    .private_segment_fixed_size: 0
    .sgpr_count:     22
    .sgpr_spill_count: 0
    .symbol:         bluestein_single_back_len1053_dim1_sp_op_CI_CI.kd
    .uniform_work_group_size: 1
    .uses_dynamic_stack: false
    .vgpr_count:     240
    .vgpr_spill_count: 0
    .wavefront_size: 32
    .workgroup_processor_mode: 1
amdhsa.target:   amdgcn-amd-amdhsa--gfx1030
amdhsa.version:
  - 1
  - 2
...

	.end_amdgpu_metadata
